;; amdgpu-corpus repo=ROCm/rocFFT kind=compiled arch=gfx1100 opt=O3
	.text
	.amdgcn_target "amdgcn-amd-amdhsa--gfx1100"
	.amdhsa_code_object_version 6
	.protected	bluestein_single_fwd_len1248_dim1_dp_op_CI_CI ; -- Begin function bluestein_single_fwd_len1248_dim1_dp_op_CI_CI
	.globl	bluestein_single_fwd_len1248_dim1_dp_op_CI_CI
	.p2align	8
	.type	bluestein_single_fwd_len1248_dim1_dp_op_CI_CI,@function
bluestein_single_fwd_len1248_dim1_dp_op_CI_CI: ; @bluestein_single_fwd_len1248_dim1_dp_op_CI_CI
; %bb.0:
	s_load_b128 s[16:19], s[0:1], 0x28
	v_mul_u32_u24_e32 v1, 0x4ed, v0
	s_mov_b32 s2, exec_lo
	v_mov_b32_e32 v13, 0
	s_delay_alu instid0(VALU_DEP_2) | instskip(NEXT) | instid1(VALU_DEP_1)
	v_lshrrev_b32_e32 v1, 16, v1
	v_add_nc_u32_e32 v12, s15, v1
	s_waitcnt lgkmcnt(0)
	s_delay_alu instid0(VALU_DEP_1)
	v_cmpx_gt_u64_e64 s[16:17], v[12:13]
	s_cbranch_execz .LBB0_10
; %bb.1:
	s_clause 0x1
	s_load_b128 s[4:7], s[0:1], 0x18
	s_load_b128 s[8:11], s[0:1], 0x0
	v_mul_lo_u16 v1, v1, 52
	v_mov_b32_e32 v8, v12
	s_delay_alu instid0(VALU_DEP_2) | instskip(NEXT) | instid1(VALU_DEP_1)
	v_sub_nc_u16 v96, v0, v1
	v_and_b32_e32 v145, 0xffff, v96
	s_delay_alu instid0(VALU_DEP_1)
	v_lshlrev_b32_e32 v240, 4, v145
	v_or_b32_e32 v18, 0x340, v145
	s_waitcnt lgkmcnt(0)
	s_load_b128 s[12:15], s[4:5], 0x0
	s_clause 0x4
	global_load_b128 v[202:205], v240, s[8:9]
	global_load_b128 v[198:201], v240, s[8:9] offset:832
	global_load_b128 v[190:193], v240, s[8:9] offset:1664
	;; [unrolled: 1-line block ×4, first 2 shown]
	scratch_store_b64 off, v[8:9], off offset:40 ; 8-byte Folded Spill
	s_waitcnt lgkmcnt(0)
	v_mad_u64_u32 v[0:1], null, s14, v12, 0
	v_mad_u64_u32 v[2:3], null, s12, v145, 0
	s_mul_i32 s3, s13, 0x2700
	s_mul_hi_u32 s5, s12, 0x2700
	s_mul_i32 s14, s13, 0xffffdc40
	s_add_i32 s3, s5, s3
	s_mul_i32 s4, s12, 0xffffdc40
	s_delay_alu instid0(VALU_DEP_1) | instskip(SKIP_1) | instid1(SALU_CYCLE_1)
	v_mad_u64_u32 v[8:9], null, s15, v12, v[1:2]
	s_mul_hi_u32 s15, s12, 0xffffdc40
	s_sub_i32 s5, s15, s12
	s_delay_alu instid0(SALU_CYCLE_1) | instskip(NEXT) | instid1(VALU_DEP_1)
	s_add_i32 s5, s5, s14
	v_mov_b32_e32 v1, v8
	v_add_co_u32 v10, s2, s8, v240
	s_delay_alu instid0(VALU_DEP_1) | instskip(NEXT) | instid1(VALU_DEP_3)
	v_add_co_ci_u32_e64 v11, null, s9, 0, s2
	v_lshlrev_b64 v[0:1], 4, v[0:1]
	s_delay_alu instid0(VALU_DEP_3) | instskip(NEXT) | instid1(VALU_DEP_3)
	v_add_co_u32 v88, vcc_lo, 0x2000, v10
	v_add_co_ci_u32_e32 v89, vcc_lo, 0, v11, vcc_lo
	v_add_co_u32 v4, vcc_lo, 0x3000, v10
	v_add_co_ci_u32_e32 v5, vcc_lo, 0, v11, vcc_lo
	;; [unrolled: 2-line block ×3, first 2 shown]
	v_add_co_u32 v92, vcc_lo, 0x4000, v10
	v_mad_u64_u32 v[9:10], null, s13, v145, v[3:4]
	v_add_co_ci_u32_e32 v93, vcc_lo, 0, v11, vcc_lo
	v_add_co_u32 v14, vcc_lo, s18, v0
	v_add_co_ci_u32_e32 v15, vcc_lo, s19, v1, vcc_lo
	s_delay_alu instid0(VALU_DEP_4)
	v_mov_b32_e32 v3, v9
	s_mul_i32 s2, s12, 0x2700
	s_clause 0x2
	global_load_b128 v[234:237], v[88:89], off offset:1792
	global_load_b128 v[230:233], v[88:89], off offset:2624
	;; [unrolled: 1-line block ×3, first 2 shown]
	v_lshlrev_b64 v[2:3], 4, v[2:3]
	s_delay_alu instid0(VALU_DEP_1) | instskip(NEXT) | instid1(VALU_DEP_2)
	v_add_co_u32 v0, vcc_lo, v14, v2
	v_add_co_ci_u32_e32 v1, vcc_lo, v15, v3, vcc_lo
	v_mad_u64_u32 v[2:3], null, s12, v18, 0
	s_delay_alu instid0(VALU_DEP_3) | instskip(NEXT) | instid1(VALU_DEP_3)
	v_add_co_u32 v8, vcc_lo, v0, s2
	v_add_co_ci_u32_e32 v9, vcc_lo, s3, v1, vcc_lo
	s_delay_alu instid0(VALU_DEP_2) | instskip(NEXT) | instid1(VALU_DEP_2)
	v_add_co_u32 v12, vcc_lo, v8, s4
	v_add_co_ci_u32_e32 v13, vcc_lo, s5, v9, vcc_lo
	v_mad_u64_u32 v[10:11], null, s13, v18, v[3:4]
	s_delay_alu instid0(VALU_DEP_3) | instskip(NEXT) | instid1(VALU_DEP_3)
	v_add_co_u32 v16, vcc_lo, v12, s2
	v_add_co_ci_u32_e32 v17, vcc_lo, s3, v13, vcc_lo
	s_delay_alu instid0(VALU_DEP_2) | instskip(NEXT) | instid1(VALU_DEP_2)
	v_add_co_u32 v20, vcc_lo, v16, s4
	v_add_co_ci_u32_e32 v21, vcc_lo, s5, v17, vcc_lo
	v_mov_b32_e32 v3, v10
	s_delay_alu instid0(VALU_DEP_3) | instskip(NEXT) | instid1(VALU_DEP_3)
	v_add_co_u32 v24, vcc_lo, v20, s2
	v_add_co_ci_u32_e32 v25, vcc_lo, s3, v21, vcc_lo
	s_delay_alu instid0(VALU_DEP_3) | instskip(NEXT) | instid1(VALU_DEP_3)
	v_lshlrev_b64 v[2:3], 4, v[2:3]
	v_add_co_u32 v28, vcc_lo, v24, s4
	s_delay_alu instid0(VALU_DEP_3) | instskip(NEXT) | instid1(VALU_DEP_2)
	v_add_co_ci_u32_e32 v29, vcc_lo, s5, v25, vcc_lo
	v_add_co_u32 v32, vcc_lo, v28, s2
	s_delay_alu instid0(VALU_DEP_2) | instskip(NEXT) | instid1(VALU_DEP_2)
	v_add_co_ci_u32_e32 v33, vcc_lo, s3, v29, vcc_lo
	v_add_co_u32 v36, vcc_lo, v32, s4
	s_delay_alu instid0(VALU_DEP_2) | instskip(NEXT) | instid1(VALU_DEP_1)
	v_add_co_ci_u32_e32 v37, vcc_lo, s5, v33, vcc_lo
	v_mad_u64_u32 v[40:41], null, 0x340, s12, v[36:37]
	v_lshlrev_b32_e32 v19, 4, v18
	scratch_store_b32 off, v19, off offset:736 ; 4-byte Folded Spill
	s_clause 0x1
	global_load_b128 v[222:225], v19, s[8:9]
	global_load_b128 v[218:221], v[6:7], off offset:64
	scratch_store_b32 off, v18, off offset:48 ; 4-byte Folded Spill
	v_mov_b32_e32 v18, v41
	s_clause 0x5
	global_load_b128 v[241:244], v[4:5], off offset:192
	global_load_b128 v[210:213], v[4:5], off offset:1856
	;; [unrolled: 1-line block ×6, first 2 shown]
	v_add_co_u32 v4, vcc_lo, v14, v2
	v_add_co_ci_u32_e32 v5, vcc_lo, v15, v3, vcc_lo
	s_clause 0x1
	global_load_b128 v[146:149], v[6:7], off offset:2560
	global_load_b128 v[162:165], v[6:7], off offset:3392
	s_clause 0x3
	global_load_b128 v[0:3], v[0:1], off
	global_load_b128 v[4:7], v[4:5], off
	;; [unrolled: 1-line block ×4, first 2 shown]
	v_mad_u64_u32 v[34:35], null, 0x340, s13, v[18:19]
	v_add_co_u32 v44, vcc_lo, v40, s2
	s_clause 0x1
	global_load_b128 v[170:173], v[92:93], off offset:256
	global_load_b128 v[174:177], v[92:93], off offset:1088
	global_load_b128 v[16:19], v[16:17], off
	global_load_b128 v[178:181], v[88:89], off offset:128
	global_load_b128 v[20:23], v[20:21], off
	;; [unrolled: 2-line block ×3, first 2 shown]
	global_load_b128 v[28:31], v[28:29], off
	global_load_b128 v[36:39], v[36:37], off
	v_mov_b32_e32 v41, v34
	global_load_b128 v[32:35], v[32:33], off
	v_add_co_ci_u32_e32 v45, vcc_lo, s3, v41, vcc_lo
	v_add_co_u32 v48, vcc_lo, v44, s4
	s_delay_alu instid0(VALU_DEP_2) | instskip(NEXT) | instid1(VALU_DEP_2)
	v_add_co_ci_u32_e32 v49, vcc_lo, s5, v45, vcc_lo
	v_add_co_u32 v52, vcc_lo, v48, s2
	global_load_b128 v[44:47], v[44:45], off
	v_add_co_ci_u32_e32 v53, vcc_lo, s3, v49, vcc_lo
	v_add_co_u32 v56, vcc_lo, v52, s4
	global_load_b128 v[48:51], v[48:49], off
	v_add_co_ci_u32_e32 v57, vcc_lo, s5, v53, vcc_lo
	v_add_co_u32 v60, vcc_lo, v56, s2
	global_load_b128 v[52:55], v[52:53], off
	v_add_co_ci_u32_e32 v61, vcc_lo, s3, v57, vcc_lo
	v_add_co_u32 v64, vcc_lo, v60, s4
	global_load_b128 v[56:59], v[56:57], off
	v_add_co_ci_u32_e32 v65, vcc_lo, s5, v61, vcc_lo
	global_load_b128 v[60:63], v[60:61], off
	v_add_co_u32 v68, vcc_lo, v64, s2
	v_add_co_ci_u32_e32 v69, vcc_lo, s3, v65, vcc_lo
	global_load_b128 v[64:67], v[64:65], off
	v_add_co_u32 v72, vcc_lo, v68, s4
	;; [unrolled: 3-line block ×6, first 2 shown]
	v_add_co_ci_u32_e32 v91, vcc_lo, s5, v85, vcc_lo
	s_delay_alu instid0(VALU_DEP_2) | instskip(NEXT) | instid1(VALU_DEP_2)
	v_add_co_u32 v94, vcc_lo, v90, s2
	v_add_co_ci_u32_e32 v95, vcc_lo, s3, v91, vcc_lo
	s_load_b64 s[2:3], s[0:1], 0x38
	v_cmp_gt_u16_e32 vcc_lo, 44, v96
	s_waitcnt vmcnt(23)
	v_mul_f64 v[97:98], v[2:3], v[204:205]
	v_mul_f64 v[99:100], v[0:1], v[204:205]
	s_waitcnt vmcnt(21)
	v_mul_f64 v[105:106], v[10:11], v[236:237]
	s_waitcnt vmcnt(20)
	v_mul_f64 v[109:110], v[14:15], v[200:201]
	v_mul_f64 v[111:112], v[12:13], v[200:201]
	;; [unrolled: 1-line block ×5, first 2 shown]
	s_waitcnt vmcnt(17)
	v_mul_f64 v[113:114], v[18:19], v[232:233]
	v_mul_f64 v[115:116], v[16:17], v[232:233]
	s_waitcnt vmcnt(13)
	v_mul_f64 v[121:122], v[26:27], v[228:229]
	v_mul_f64 v[123:124], v[24:25], v[228:229]
	;; [unrolled: 1-line block ×4, first 2 shown]
	s_waitcnt vmcnt(12)
	v_mul_f64 v[125:126], v[30:31], v[184:185]
	v_mul_f64 v[127:128], v[28:29], v[184:185]
	s_waitcnt vmcnt(10)
	v_mul_f64 v[129:130], v[34:35], v[243:244]
	v_mul_f64 v[131:132], v[32:33], v[243:244]
	;; [unrolled: 1-line block ×4, first 2 shown]
	s_waitcnt vmcnt(9)
	v_mul_f64 v[141:142], v[46:47], v[212:213]
	v_mul_f64 v[143:144], v[44:45], v[212:213]
	v_fma_f64 v[0:1], v[0:1], v[202:203], v[97:98]
	v_fma_f64 v[2:3], v[2:3], v[202:203], -v[99:100]
	v_fma_f64 v[8:9], v[8:9], v[234:235], v[105:106]
	v_fma_f64 v[12:13], v[12:13], v[198:199], v[109:110]
	s_waitcnt vmcnt(6)
	v_mul_f64 v[105:106], v[58:59], v[156:157]
	v_fma_f64 v[14:15], v[14:15], v[198:199], -v[111:112]
	s_waitcnt vmcnt(5)
	v_mul_f64 v[109:110], v[62:63], v[152:153]
	v_mul_f64 v[111:112], v[60:61], v[152:153]
	v_fma_f64 v[10:11], v[10:11], v[234:235], -v[107:108]
	v_mul_f64 v[107:108], v[56:57], v[156:157]
	v_mul_f64 v[97:98], v[50:51], v[216:217]
	;; [unrolled: 1-line block ×3, first 2 shown]
	v_fma_f64 v[4:5], v[4:5], v[222:223], v[101:102]
	v_fma_f64 v[6:7], v[6:7], v[222:223], -v[103:104]
	v_mul_f64 v[101:102], v[54:55], v[168:169]
	v_mul_f64 v[103:104], v[52:53], v[168:169]
	v_fma_f64 v[16:17], v[16:17], v[230:231], v[113:114]
	v_fma_f64 v[18:19], v[18:19], v[230:231], -v[115:116]
	s_waitcnt vmcnt(4)
	v_mul_f64 v[113:114], v[66:67], v[148:149]
	v_mul_f64 v[115:116], v[64:65], v[148:149]
	v_fma_f64 v[24:25], v[24:25], v[226:227], v[121:122]
	v_fma_f64 v[26:27], v[26:27], v[226:227], -v[123:124]
	s_waitcnt vmcnt(2)
	v_mul_f64 v[121:122], v[74:75], v[164:165]
	v_mul_f64 v[123:124], v[72:73], v[164:165]
	v_fma_f64 v[20:21], v[20:21], v[190:191], v[117:118]
	v_fma_f64 v[22:23], v[22:23], v[190:191], -v[119:120]
	v_mul_f64 v[117:118], v[70:71], v[172:173]
	v_mul_f64 v[119:120], v[68:69], v[172:173]
	v_fma_f64 v[28:29], v[28:29], v[182:183], v[125:126]
	v_fma_f64 v[30:31], v[30:31], v[182:183], -v[127:128]
	s_waitcnt vmcnt(1)
	v_mul_f64 v[125:126], v[78:79], v[176:177]
	v_mul_f64 v[127:128], v[76:77], v[176:177]
	v_fma_f64 v[32:33], v[32:33], v[241:242], v[129:130]
	v_fma_f64 v[34:35], v[34:35], v[241:242], -v[131:132]
	s_waitcnt vmcnt(0)
	v_mul_f64 v[129:130], v[82:83], v[180:181]
	v_mul_f64 v[131:132], v[80:81], v[180:181]
	v_fma_f64 v[36:37], v[36:37], v[158:159], v[133:134]
	v_fma_f64 v[38:39], v[38:39], v[158:159], -v[135:136]
	v_fma_f64 v[44:45], v[44:45], v[210:211], v[141:142]
	v_fma_f64 v[46:47], v[46:47], v[210:211], -v[143:144]
	v_fma_f64 v[56:57], v[56:57], v[154:155], v[105:106]
	v_fma_f64 v[60:61], v[60:61], v[150:151], v[109:110]
	v_add_co_u32 v110, null, 0xd0, v145
	v_fma_f64 v[58:59], v[58:59], v[154:155], -v[107:108]
	v_fma_f64 v[48:49], v[48:49], v[214:215], v[97:98]
	v_fma_f64 v[50:51], v[50:51], v[214:215], -v[99:100]
	s_delay_alu instid0(VALU_DEP_4)
	v_lshlrev_b32_e32 v106, 5, v110
	global_load_b128 v[40:43], v[40:41], off
	global_load_b128 v[84:87], v[84:85], off
	global_load_b128 v[206:209], v[88:89], off offset:960
	global_load_b128 v[88:91], v[90:91], off
	global_load_b128 v[186:189], v[92:93], off offset:2752
	global_load_b128 v[92:95], v[94:95], off
	v_fma_f64 v[52:53], v[52:53], v[166:167], v[101:102]
	v_fma_f64 v[54:55], v[54:55], v[166:167], -v[103:104]
	v_fma_f64 v[62:63], v[62:63], v[150:151], -v[111:112]
	v_fma_f64 v[64:65], v[64:65], v[146:147], v[113:114]
	v_fma_f64 v[66:67], v[66:67], v[146:147], -v[115:116]
	s_clause 0x2
	scratch_store_b128 off, v[202:205], off offset:276
	scratch_store_b128 off, v[222:225], off offset:356
	scratch_store_b128 off, v[218:221], off offset:340
	v_fma_f64 v[72:73], v[72:73], v[162:163], v[121:122]
	v_fma_f64 v[74:75], v[74:75], v[162:163], -v[123:124]
	s_clause 0x1
	scratch_store_b128 off, v[234:237], off offset:404
	scratch_store_b128 off, v[241:244], off offset:420
	v_fma_f64 v[68:69], v[68:69], v[170:171], v[117:118]
	v_fma_f64 v[70:71], v[70:71], v[170:171], -v[119:120]
	s_clause 0x1
	scratch_store_b128 off, v[198:201], off offset:260
	scratch_store_b128 off, v[194:197], off offset:244
	v_fma_f64 v[76:77], v[76:77], v[174:175], v[125:126]
	v_fma_f64 v[78:79], v[78:79], v[174:175], -v[127:128]
	s_clause 0x1
	scratch_store_b128 off, v[230:233], off offset:388
	scratch_store_b128 off, v[226:229], off offset:372
	v_fma_f64 v[80:81], v[80:81], v[178:179], v[129:130]
	v_fma_f64 v[82:83], v[82:83], v[178:179], -v[131:132]
	s_clause 0xc
	scratch_store_b128 off, v[190:193], off offset:228
	scratch_store_b128 off, v[182:185], off offset:196
	scratch_store_b128 off, v[178:181], off offset:180
	scratch_store_b128 off, v[158:161], off offset:100
	;; [unrolled: 1-line block ×11, first 2 shown]
	s_load_b128 s[4:7], s[6:7], 0x0
	v_add_co_u32 v241, null, v145, 52
	v_add_co_u32 v112, null, 0x68, v145
	;; [unrolled: 1-line block ×9, first 2 shown]
	v_and_b32_e32 v121, 1, v145
	v_lshlrev_b32_e32 v98, 5, v145
	v_lshlrev_b32_e32 v109, 5, v241
	;; [unrolled: 1-line block ×16, first 2 shown]
	s_waitcnt vmcnt(4)
	v_mul_f64 v[133:134], v[86:87], v[196:197]
	v_mul_f64 v[135:136], v[84:85], v[196:197]
	s_waitcnt vmcnt(3)
	scratch_store_b128 off, v[206:209], off offset:292 ; 16-byte Folded Spill
	v_mul_f64 v[137:138], v[42:43], v[220:221]
	v_mul_f64 v[139:140], v[40:41], v[220:221]
	s_waitcnt vmcnt(0)
	v_mul_f64 v[141:142], v[94:95], v[188:189]
	v_mul_f64 v[143:144], v[92:93], v[188:189]
	scratch_store_b128 off, v[186:189], off offset:212 ; 16-byte Folded Spill
	v_fma_f64 v[84:85], v[84:85], v[194:195], v[133:134]
	v_fma_f64 v[86:87], v[86:87], v[194:195], -v[135:136]
	v_add_co_u32 v133, null, 0x1d4, v145
	v_fma_f64 v[40:41], v[40:41], v[218:219], v[137:138]
	v_fma_f64 v[42:43], v[42:43], v[218:219], -v[139:140]
	v_mul_f64 v[137:138], v[90:91], v[208:209]
	v_mul_f64 v[139:140], v[88:89], v[208:209]
	v_fma_f64 v[92:93], v[92:93], v[186:187], v[141:142]
	v_fma_f64 v[94:95], v[94:95], v[186:187], -v[143:144]
	v_lshlrev_b32_e32 v101, 5, v133
	v_fma_f64 v[88:89], v[88:89], v[206:207], v[137:138]
	v_fma_f64 v[90:91], v[90:91], v[206:207], -v[139:140]
	ds_store_b128 v240, v[0:3]
	ds_store_b128 v240, v[12:15] offset:832
	ds_store_b128 v240, v[8:11] offset:9984
	;; [unrolled: 1-line block ×23, first 2 shown]
	s_waitcnt lgkmcnt(0)
	s_waitcnt_vscnt null, 0x0
	s_barrier
	buffer_gl0_inv
	ds_load_b128 v[0:3], v240
	ds_load_b128 v[4:7], v240 offset:832
	ds_load_b128 v[48:51], v240 offset:9984
	;; [unrolled: 1-line block ×23, first 2 shown]
	s_waitcnt lgkmcnt(21)
	v_add_f64 v[48:49], v[0:1], -v[48:49]
	v_add_f64 v[50:51], v[2:3], -v[50:51]
	s_waitcnt lgkmcnt(20)
	v_add_f64 v[52:53], v[4:5], -v[52:53]
	v_add_f64 v[54:55], v[6:7], -v[54:55]
	;; [unrolled: 3-line block ×12, first 2 shown]
	s_barrier
	buffer_gl0_inv
	scratch_store_b32 off, v98, off offset:740 ; 4-byte Folded Spill
	v_fma_f64 v[0:1], v[0:1], 2.0, -v[48:49]
	v_fma_f64 v[2:3], v[2:3], 2.0, -v[50:51]
	;; [unrolled: 1-line block ×24, first 2 shown]
	ds_store_b128 v98, v[0:3]
	ds_store_b128 v98, v[48:51] offset:16
	ds_store_b128 v109, v[4:7]
	scratch_store_b32 off, v109, off offset:1024 ; 4-byte Folded Spill
	ds_store_b128 v109, v[52:55] offset:16
	ds_store_b128 v108, v[8:11]
	scratch_store_b32 off, v108, off offset:1020 ; 4-byte Folded Spill
	;; [unrolled: 3-line block ×11, first 2 shown]
	ds_store_b128 v99, v[92:95] offset:16
	s_waitcnt lgkmcnt(0)
	s_waitcnt_vscnt null, 0x0
	s_barrier
	buffer_gl0_inv
	global_load_b128 v[232:235], v97, s[10:11]
	ds_load_b128 v[0:3], v240 offset:9984
	ds_load_b128 v[4:7], v240 offset:10816
	;; [unrolled: 1-line block ×12, first 2 shown]
	s_clause 0x3
	scratch_store_b32 off, v145, off
	scratch_store_b32 off, v111, off offset:440
	scratch_store_b32 off, v112, off offset:444
	;; [unrolled: 1-line block ×3, first 2 shown]
	ds_load_b128 v[48:51], v240
	ds_load_b128 v[52:55], v240 offset:832
	s_clause 0x4
	scratch_store_b32 off, v127, off offset:720
	scratch_store_b32 off, v128, off offset:744
	;; [unrolled: 1-line block ×5, first 2 shown]
	v_lshlrev_b32_e32 v126, 1, v126
	v_lshlrev_b32_e32 v127, 1, v127
	;; [unrolled: 1-line block ×4, first 2 shown]
	v_and_or_b32 v130, 0x7c, v130, v121
	s_delay_alu instid0(VALU_DEP_1)
	v_lshlrev_b32_e32 v130, 4, v130
	s_waitcnt vmcnt(0) lgkmcnt(13)
	v_mul_f64 v[56:57], v[2:3], v[234:235]
	v_mul_f64 v[58:59], v[0:1], v[234:235]
	s_waitcnt lgkmcnt(12)
	v_mul_f64 v[60:61], v[6:7], v[234:235]
	v_mul_f64 v[62:63], v[4:5], v[234:235]
	s_waitcnt lgkmcnt(11)
	;; [unrolled: 3-line block ×11, first 2 shown]
	v_mul_f64 v[101:102], v[46:47], v[234:235]
	v_mul_f64 v[103:104], v[44:45], v[234:235]
	v_fma_f64 v[0:1], v[0:1], v[232:233], -v[56:57]
	v_fma_f64 v[2:3], v[2:3], v[232:233], v[58:59]
	v_fma_f64 v[105:106], v[4:5], v[232:233], -v[60:61]
	v_fma_f64 v[107:108], v[6:7], v[232:233], v[62:63]
	;; [unrolled: 2-line block ×12, first 2 shown]
	ds_load_b128 v[4:7], v240 offset:1664
	ds_load_b128 v[28:31], v240 offset:2496
	;; [unrolled: 1-line block ×10, first 2 shown]
	s_clause 0x2
	scratch_store_b32 off, v133, off offset:456
	scratch_store_b32 off, v132, off offset:452
	;; [unrolled: 1-line block ×3, first 2 shown]
	s_waitcnt lgkmcnt(0)
	s_waitcnt_vscnt null, 0x0
	s_barrier
	buffer_gl0_inv
	scratch_store_b32 off, v130, off offset:816 ; 4-byte Folded Spill
	v_add_f64 v[72:73], v[48:49], -v[0:1]
	v_add_f64 v[74:75], v[50:51], -v[2:3]
	;; [unrolled: 1-line block ×24, first 2 shown]
	v_lshlrev_b32_e32 v97, 1, v133
	v_lshlrev_b32_e32 v98, 1, v132
	v_and_or_b32 v115, 0x1fc, v123, v121
	v_and_or_b32 v116, 0x1fc, v124, v121
	v_lshlrev_b32_e32 v113, 1, v131
	v_and_or_b32 v123, 0x7fc, v97, v121
	v_and_or_b32 v124, 0x4fc, v98, v121
	;; [unrolled: 1-line block ×7, first 2 shown]
	v_fma_f64 v[48:49], v[48:49], 2.0, -v[72:73]
	v_fma_f64 v[50:51], v[50:51], 2.0, -v[74:75]
	;; [unrolled: 1-line block ×4, first 2 shown]
	v_and_or_b32 v122, 0x3fc, v129, v121
	v_fma_f64 v[4:5], v[4:5], 2.0, -v[80:81]
	v_fma_f64 v[6:7], v[6:7], 2.0, -v[82:83]
	;; [unrolled: 1-line block ×20, first 2 shown]
	v_and_or_b32 v56, 0x4fc, v113, v121
	v_lshlrev_b32_e32 v66, 4, v114
	v_lshlrev_b32_e32 v65, 4, v115
	;; [unrolled: 1-line block ×11, first 2 shown]
	ds_store_b128 v130, v[48:51]
	ds_store_b128 v130, v[72:75] offset:32
	ds_store_b128 v66, v[52:55]
	scratch_store_b32 off, v66, off offset:964 ; 4-byte Folded Spill
	ds_store_b128 v66, v[76:79] offset:32
	ds_store_b128 v65, v[4:7]
	scratch_store_b32 off, v65, off offset:960 ; 4-byte Folded Spill
	;; [unrolled: 3-line block ×11, first 2 shown]
	ds_store_b128 v56, v[8:11] offset:32
	s_waitcnt lgkmcnt(0)
	s_waitcnt_vscnt null, 0x0
	s_barrier
	buffer_gl0_inv
	ds_load_b128 v[4:7], v240
	ds_load_b128 v[100:103], v240 offset:1536
	ds_load_b128 v[92:95], v240 offset:3072
	;; [unrolled: 1-line block ×12, first 2 shown]
                                        ; implicit-def: $vgpr48_vgpr49
                                        ; implicit-def: $vgpr52_vgpr53
	s_and_saveexec_b32 s0, vcc_lo
	s_cbranch_execz .LBB0_3
; %bb.2:
	ds_load_b128 v[0:3], v240 offset:832
	ds_load_b128 v[44:47], v240 offset:2368
	;; [unrolled: 1-line block ×13, first 2 shown]
.LBB0_3:
	s_or_b32 exec_lo, exec_lo, s0
	scratch_load_b32 v96, off, off          ; 4-byte Folded Reload
	s_mov_b32 s22, 0x4267c47c
	s_mov_b32 s26, 0x42a4c3d2
	;; [unrolled: 1-line block ×36, first 2 shown]
	s_waitcnt vmcnt(0)
	v_and_b32_e32 v97, 3, v96
	s_delay_alu instid0(VALU_DEP_1) | instskip(NEXT) | instid1(VALU_DEP_1)
	v_mul_u32_u24_e32 v96, 12, v97
	v_lshlrev_b32_e32 v132, 4, v96
	global_load_b128 v[182:185], v132, s[10:11] offset:208
	scratch_store_b32 off, v97, off offset:4 ; 4-byte Folded Spill
	s_clause 0x7
	global_load_b128 v[96:99], v132, s[10:11] offset:32
	global_load_b128 v[112:115], v132, s[10:11] offset:64
	;; [unrolled: 1-line block ×8, first 2 shown]
	s_waitcnt vmcnt(8)
	scratch_store_b128 off, v[182:185], off offset:1044 ; 16-byte Folded Spill
	s_waitcnt vmcnt(7) lgkmcnt(11)
	v_mul_f64 v[108:109], v[100:101], v[98:99]
	s_delay_alu instid0(VALU_DEP_1) | instskip(SKIP_3) | instid1(VALU_DEP_3)
	v_fma_f64 v[178:179], v[102:103], v[96:97], v[108:109]
	v_mul_f64 v[102:103], v[102:103], v[98:99]
	s_waitcnt lgkmcnt(0)
	v_mul_f64 v[108:109], v[104:105], v[184:185]
	v_add_f64 v[242:243], v[6:7], v[178:179]
	s_delay_alu instid0(VALU_DEP_3) | instskip(SKIP_3) | instid1(VALU_DEP_1)
	v_fma_f64 v[180:181], v[100:101], v[96:97], -v[102:103]
	global_load_b128 v[100:103], v132, s[10:11] offset:48
	v_fma_f64 v[144:145], v[106:107], v[182:183], v[108:109]
	v_mul_f64 v[106:107], v[106:107], v[184:185]
	v_fma_f64 v[146:147], v[104:105], v[182:183], -v[106:107]
	s_waitcnt vmcnt(0)
	v_mul_f64 v[108:109], v[94:95], v[102:103]
	scratch_store_b128 off, v[100:103], off offset:1060 ; 16-byte Folded Spill
	v_fma_f64 v[148:149], v[92:93], v[100:101], -v[108:109]
	global_load_b128 v[108:111], v132, s[10:11] offset:192
	v_mul_f64 v[92:93], v[92:93], v[102:103]
	global_load_b128 v[132:135], v132, s[10:11] offset:144
	v_fma_f64 v[94:95], v[94:95], v[100:101], v[92:93]
	s_waitcnt vmcnt(1)
	v_mul_f64 v[92:93], v[88:89], v[110:111]
	s_delay_alu instid0(VALU_DEP_1) | instskip(SKIP_1) | instid1(VALU_DEP_2)
	v_fma_f64 v[92:93], v[90:91], v[108:109], v[92:93]
	v_mul_f64 v[90:91], v[90:91], v[110:111]
	v_add_f64 v[204:205], v[94:95], -v[92:93]
	s_delay_alu instid0(VALU_DEP_2) | instskip(SKIP_2) | instid1(VALU_DEP_3)
	v_fma_f64 v[88:89], v[88:89], v[108:109], -v[90:91]
	v_mul_f64 v[90:91], v[82:83], v[114:115]
	v_add_f64 v[194:195], v[94:95], v[92:93]
	v_add_f64 v[192:193], v[148:149], v[88:89]
	s_delay_alu instid0(VALU_DEP_3) | instskip(SKIP_2) | instid1(VALU_DEP_2)
	v_fma_f64 v[150:151], v[80:81], v[112:113], -v[90:91]
	v_mul_f64 v[80:81], v[80:81], v[114:115]
	v_add_f64 v[206:207], v[148:149], -v[88:89]
	v_fma_f64 v[152:153], v[82:83], v[112:113], v[80:81]
	v_mul_f64 v[80:81], v[86:87], v[118:119]
	s_delay_alu instid0(VALU_DEP_1) | instskip(SKIP_1) | instid1(VALU_DEP_2)
	v_fma_f64 v[90:91], v[84:85], v[116:117], -v[80:81]
	v_mul_f64 v[80:81], v[84:85], v[118:119]
	v_add_f64 v[196:197], v[150:151], v[90:91]
	s_delay_alu instid0(VALU_DEP_2) | instskip(SKIP_2) | instid1(VALU_DEP_3)
	v_fma_f64 v[86:87], v[86:87], v[116:117], v[80:81]
	v_mul_f64 v[80:81], v[78:79], v[122:123]
	v_add_f64 v[210:211], v[150:151], -v[90:91]
	v_add_f64 v[208:209], v[152:153], -v[86:87]
	s_delay_alu instid0(VALU_DEP_3) | instskip(SKIP_2) | instid1(VALU_DEP_2)
	v_fma_f64 v[156:157], v[76:77], v[120:121], -v[80:81]
	v_mul_f64 v[76:77], v[76:77], v[122:123]
	v_add_f64 v[198:199], v[152:153], v[86:87]
	v_fma_f64 v[158:159], v[78:79], v[120:121], v[76:77]
	v_mul_f64 v[76:77], v[72:73], v[126:127]
	s_delay_alu instid0(VALU_DEP_1) | instskip(SKIP_1) | instid1(VALU_DEP_2)
	v_fma_f64 v[154:155], v[74:75], v[124:125], v[76:77]
	v_mul_f64 v[74:75], v[74:75], v[126:127]
	v_add_f64 v[212:213], v[158:159], -v[154:155]
	s_delay_alu instid0(VALU_DEP_2) | instskip(SKIP_2) | instid1(VALU_DEP_3)
	v_fma_f64 v[160:161], v[72:73], v[124:125], -v[74:75]
	v_mul_f64 v[72:73], v[70:71], v[130:131]
	v_add_f64 v[190:191], v[158:159], v[154:155]
	v_add_f64 v[186:187], v[156:157], v[160:161]
	s_delay_alu instid0(VALU_DEP_3) | instskip(SKIP_2) | instid1(VALU_DEP_2)
	v_fma_f64 v[162:163], v[68:69], v[128:129], -v[72:73]
	v_mul_f64 v[68:69], v[68:69], v[130:131]
	v_add_f64 v[214:215], v[156:157], -v[160:161]
	v_fma_f64 v[164:165], v[70:71], v[128:129], v[68:69]
	v_mul_f64 v[68:69], v[66:67], v[142:143]
	s_delay_alu instid0(VALU_DEP_1) | instskip(SKIP_1) | instid1(VALU_DEP_1)
	v_fma_f64 v[166:167], v[64:65], v[140:141], -v[68:69]
	v_mul_f64 v[64:65], v[64:65], v[142:143]
	v_fma_f64 v[168:169], v[66:67], v[140:141], v[64:65]
	v_mul_f64 v[64:65], v[62:63], v[138:139]
	s_delay_alu instid0(VALU_DEP_1) | instskip(SKIP_1) | instid1(VALU_DEP_2)
	v_fma_f64 v[170:171], v[60:61], v[136:137], -v[64:65]
	v_mul_f64 v[60:61], v[60:61], v[138:139]
	v_add_f64 v[226:227], v[166:167], -v[170:171]
	s_delay_alu instid0(VALU_DEP_2) | instskip(SKIP_2) | instid1(VALU_DEP_2)
	v_fma_f64 v[172:173], v[62:63], v[136:137], v[60:61]
	s_waitcnt vmcnt(0)
	v_mul_f64 v[60:61], v[58:59], v[134:135]
	v_add_f64 v[224:225], v[168:169], -v[172:173]
	s_delay_alu instid0(VALU_DEP_2) | instskip(SKIP_3) | instid1(VALU_DEP_4)
	v_fma_f64 v[174:175], v[56:57], v[132:133], -v[60:61]
	v_mul_f64 v[56:57], v[56:57], v[134:135]
	v_add_f64 v[60:61], v[178:179], v[144:145]
	v_add_f64 v[188:189], v[168:169], v[172:173]
	v_add_f64 v[222:223], v[162:163], -v[174:175]
	s_delay_alu instid0(VALU_DEP_4) | instskip(SKIP_1) | instid1(VALU_DEP_2)
	v_fma_f64 v[176:177], v[58:59], v[132:133], v[56:57]
	v_mul_f64 v[56:57], v[46:47], v[98:99]
	v_add_f64 v[220:221], v[164:165], -v[176:177]
	s_delay_alu instid0(VALU_DEP_2) | instskip(SKIP_1) | instid1(VALU_DEP_1)
	v_fma_f64 v[250:251], v[44:45], v[96:97], -v[56:57]
	v_mul_f64 v[44:45], v[44:45], v[98:99]
	v_fma_f64 v[104:105], v[46:47], v[96:97], v[44:45]
	v_mul_f64 v[44:45], v[26:27], v[102:103]
	s_delay_alu instid0(VALU_DEP_2) | instskip(NEXT) | instid1(VALU_DEP_2)
	v_dual_mov_b32 v107, v105 :: v_dual_mov_b32 v106, v104
	v_fma_f64 v[46:47], v[24:25], v[100:101], -v[44:45]
	v_mul_f64 v[24:25], v[24:25], v[102:103]
	s_delay_alu instid0(VALU_DEP_1) | instskip(SKIP_1) | instid1(VALU_DEP_1)
	v_fma_f64 v[72:73], v[26:27], v[100:101], v[24:25]
	v_mul_f64 v[24:25], v[30:31], v[114:115]
	v_fma_f64 v[74:75], v[28:29], v[112:113], -v[24:25]
	v_mul_f64 v[24:25], v[28:29], v[114:115]
	s_delay_alu instid0(VALU_DEP_1) | instskip(SKIP_1) | instid1(VALU_DEP_1)
	v_fma_f64 v[76:77], v[30:31], v[112:113], v[24:25]
	v_mul_f64 v[24:25], v[14:15], v[122:123]
	;; [unrolled: 5-line block ×3, first 2 shown]
	v_fma_f64 v[12:13], v[32:33], v[128:129], -v[12:13]
	s_clause 0x1
	scratch_store_b128 off, v[96:99], off offset:1028
	scratch_store_b64 off, v[12:13], off offset:480
	v_mul_f64 v[12:13], v[32:33], v[130:131]
	s_delay_alu instid0(VALU_DEP_1) | instskip(SKIP_1) | instid1(VALU_DEP_1)
	v_fma_f64 v[84:85], v[34:35], v[128:129], v[12:13]
	v_mul_f64 v[12:13], v[18:19], v[142:143]
	v_fma_f64 v[82:83], v[16:17], v[140:141], -v[12:13]
	v_mul_f64 v[12:13], v[16:17], v[142:143]
	s_delay_alu instid0(VALU_DEP_1) | instskip(SKIP_1) | instid1(VALU_DEP_1)
	v_fma_f64 v[96:97], v[18:19], v[140:141], v[12:13]
	v_mul_f64 v[12:13], v[38:39], v[138:139]
	v_fma_f64 v[12:13], v[36:37], v[136:137], -v[12:13]
	s_clause 0x1
	scratch_store_b64 off, v[24:25], off offset:472
	scratch_store_b64 off, v[12:13], off offset:464
	v_mul_f64 v[12:13], v[36:37], v[138:139]
	s_delay_alu instid0(VALU_DEP_1) | instskip(SKIP_1) | instid1(VALU_DEP_1)
	v_fma_f64 v[38:39], v[38:39], v[136:137], v[12:13]
	v_mul_f64 v[12:13], v[22:23], v[134:135]
	v_fma_f64 v[36:37], v[20:21], v[132:133], -v[12:13]
	v_mul_f64 v[12:13], v[20:21], v[134:135]
	v_add_f64 v[20:21], v[180:181], v[146:147]
	s_delay_alu instid0(VALU_DEP_2) | instskip(SKIP_1) | instid1(VALU_DEP_1)
	v_fma_f64 v[98:99], v[22:23], v[132:133], v[12:13]
	v_mul_f64 v[12:13], v[42:43], v[126:127]
	v_fma_f64 v[100:101], v[40:41], v[124:125], -v[12:13]
	v_mul_f64 v[12:13], v[40:41], v[126:127]
	s_delay_alu instid0(VALU_DEP_1) | instskip(SKIP_1) | instid1(VALU_DEP_1)
	v_fma_f64 v[40:41], v[42:43], v[124:125], v[12:13]
	v_mul_f64 v[12:13], v[10:11], v[118:119]
	v_fma_f64 v[102:103], v[8:9], v[116:117], -v[12:13]
	v_mul_f64 v[8:9], v[8:9], v[118:119]
	s_delay_alu instid0(VALU_DEP_1) | instskip(SKIP_1) | instid1(VALU_DEP_1)
	v_fma_f64 v[78:79], v[10:11], v[116:117], v[8:9]
	v_mul_f64 v[8:9], v[50:51], v[110:111]
	v_fma_f64 v[42:43], v[48:49], v[108:109], -v[8:9]
	v_mul_f64 v[8:9], v[48:49], v[110:111]
	v_dual_mov_b32 v48, v250 :: v_dual_mov_b32 v49, v251
	s_delay_alu instid0(VALU_DEP_2) | instskip(SKIP_1) | instid1(VALU_DEP_1)
	v_fma_f64 v[50:51], v[50:51], v[108:109], v[8:9]
	v_mul_f64 v[8:9], v[54:55], v[184:185]
	v_fma_f64 v[252:253], v[52:53], v[182:183], -v[8:9]
	v_mul_f64 v[8:9], v[52:53], v[184:185]
	s_delay_alu instid0(VALU_DEP_2) | instskip(NEXT) | instid1(VALU_DEP_2)
	v_add_f64 v[254:255], v[250:251], -v[252:253]
	v_fma_f64 v[52:53], v[54:55], v[182:183], v[8:9]
	v_add_f64 v[8:9], v[178:179], -v[144:145]
	s_clause 0x5
	scratch_store_b64 off, v[252:253], off offset:704
	scratch_store_b64 off, v[46:47], off offset:488
	;; [unrolled: 1-line block ×6, first 2 shown]
	v_add_f64 v[248:249], v[104:105], -v[52:53]
	v_mul_f64 v[10:11], v[8:9], s[22:23]
	v_mul_f64 v[12:13], v[8:9], s[26:27]
	;; [unrolled: 1-line block ×7, first 2 shown]
	v_fma_f64 v[22:23], v[20:21], s[20:21], -v[10:11]
	v_fma_f64 v[10:11], v[20:21], s[20:21], v[10:11]
	v_fma_f64 v[24:25], v[20:21], s[16:17], -v[12:13]
	v_fma_f64 v[12:13], v[20:21], s[16:17], v[12:13]
	v_fma_f64 v[26:27], v[20:21], s[18:19], -v[14:15]
	v_fma_f64 v[14:15], v[20:21], s[18:19], v[14:15]
	v_fma_f64 v[28:29], v[20:21], s[14:15], -v[16:17]
	v_fma_f64 v[16:17], v[20:21], s[14:15], v[16:17]
	v_fma_f64 v[30:31], v[20:21], s[12:13], -v[18:19]
	v_fma_f64 v[18:19], v[20:21], s[12:13], v[18:19]
	v_fma_f64 v[32:33], v[20:21], s[0:1], -v[8:9]
	v_fma_f64 v[8:9], v[20:21], s[0:1], v[8:9]
	v_add_f64 v[20:21], v[180:181], -v[146:147]
	v_add_f64 v[22:23], v[4:5], v[22:23]
	v_add_f64 v[10:11], v[4:5], v[10:11]
	;; [unrolled: 1-line block ×11, first 2 shown]
	v_mul_f64 v[34:35], v[20:21], s[22:23]
	v_mul_f64 v[44:45], v[20:21], s[26:27]
	;; [unrolled: 1-line block ×8, first 2 shown]
	v_fma_f64 v[62:63], v[60:61], s[20:21], v[34:35]
	v_fma_f64 v[64:65], v[60:61], s[16:17], v[44:45]
	v_fma_f64 v[66:67], v[60:61], s[16:17], -v[44:45]
	v_fma_f64 v[68:69], v[60:61], s[18:19], v[54:55]
	v_fma_f64 v[34:35], v[60:61], s[20:21], -v[34:35]
	v_fma_f64 v[54:55], v[60:61], s[18:19], -v[54:55]
	v_fma_f64 v[70:71], v[60:61], s[14:15], v[56:57]
	v_fma_f64 v[56:57], v[60:61], s[14:15], -v[56:57]
	v_fma_f64 v[182:183], v[60:61], s[12:13], v[58:59]
	;; [unrolled: 2-line block ×3, first 2 shown]
	v_fma_f64 v[20:21], v[60:61], s[0:1], -v[20:21]
	v_add_f64 v[44:45], v[4:5], v[180:181]
	v_fma_f64 v[18:19], v[196:197], s[18:19], -v[16:17]
	v_add_f64 v[180:181], v[162:163], v[174:175]
	v_add_f64 v[60:61], v[6:7], v[62:63]
	;; [unrolled: 1-line block ×6, first 2 shown]
	v_fma_f64 v[4:5], v[192:193], s[16:17], -v[8:9]
	v_mul_f64 v[14:15], v[206:207], s[26:27]
	v_add_f64 v[34:35], v[6:7], v[34:35]
	v_add_f64 v[228:229], v[6:7], v[54:55]
	;; [unrolled: 1-line block ×8, first 2 shown]
	v_fma_f64 v[8:9], v[192:193], s[16:17], v[8:9]
	v_add_f64 v[184:185], v[164:165], v[176:177]
	v_add_f64 v[182:183], v[166:167], v[170:171]
	;; [unrolled: 1-line block ×4, first 2 shown]
	v_fma_f64 v[6:7], v[194:195], s[16:17], v[14:15]
	v_add_f64 v[8:9], v[8:9], v[10:11]
	v_fma_f64 v[10:11], v[194:195], s[16:17], -v[14:15]
	v_fma_f64 v[14:15], v[196:197], s[18:19], v[16:17]
	v_add_f64 v[44:45], v[44:45], v[150:151]
	v_add_f64 v[4:5], v[18:19], v[4:5]
	v_mul_f64 v[18:19], v[210:211], s[34:35]
	v_add_f64 v[6:7], v[6:7], v[60:61]
	v_add_f64 v[10:11], v[10:11], v[34:35]
	;; [unrolled: 1-line block ×4, first 2 shown]
	v_mul_f64 v[156:157], v[254:255], s[26:27]
	v_fma_f64 v[20:21], v[198:199], s[18:19], v[18:19]
	v_fma_f64 v[14:15], v[198:199], s[18:19], -v[18:19]
	s_delay_alu instid0(VALU_DEP_4) | instskip(NEXT) | instid1(VALU_DEP_3)
	v_add_f64 v[44:45], v[44:45], v[162:163]
	v_add_f64 v[6:7], v[20:21], v[6:7]
	v_mul_f64 v[20:21], v[212:213], s[24:25]
	s_delay_alu instid0(VALU_DEP_4) | instskip(NEXT) | instid1(VALU_DEP_4)
	v_add_f64 v[10:11], v[14:15], v[10:11]
	v_add_f64 v[44:45], v[44:45], v[166:167]
	s_delay_alu instid0(VALU_DEP_3) | instskip(SKIP_2) | instid1(VALU_DEP_4)
	v_fma_f64 v[22:23], v[186:187], s[14:15], -v[20:21]
	v_fma_f64 v[14:15], v[186:187], s[14:15], v[20:21]
	v_mul_f64 v[20:21], v[206:207], s[24:25]
	v_add_f64 v[44:45], v[44:45], v[170:171]
	s_delay_alu instid0(VALU_DEP_4) | instskip(SKIP_4) | instid1(VALU_DEP_4)
	v_add_f64 v[4:5], v[22:23], v[4:5]
	v_mul_f64 v[22:23], v[214:215], s[24:25]
	v_add_f64 v[8:9], v[14:15], v[8:9]
	v_fma_f64 v[18:19], v[194:195], s[14:15], v[20:21]
	v_add_f64 v[44:45], v[44:45], v[174:175]
	v_fma_f64 v[30:31], v[190:191], s[14:15], v[22:23]
	v_fma_f64 v[14:15], v[190:191], s[14:15], -v[22:23]
	v_mul_f64 v[22:23], v[208:209], s[28:29]
	v_add_f64 v[18:19], v[18:19], v[62:63]
	v_add_f64 v[44:45], v[44:45], v[160:161]
	;; [unrolled: 1-line block ×3, first 2 shown]
	v_mul_f64 v[30:31], v[220:221], s[30:31]
	v_add_f64 v[10:11], v[14:15], v[10:11]
	s_delay_alu instid0(VALU_DEP_4) | instskip(NEXT) | instid1(VALU_DEP_3)
	v_add_f64 v[44:45], v[44:45], v[90:91]
	v_fma_f64 v[32:33], v[180:181], s[12:13], -v[30:31]
	v_fma_f64 v[14:15], v[180:181], s[12:13], v[30:31]
	s_delay_alu instid0(VALU_DEP_3) | instskip(NEXT) | instid1(VALU_DEP_3)
	v_add_f64 v[44:45], v[44:45], v[88:89]
	v_add_f64 v[4:5], v[32:33], v[4:5]
	v_mul_f64 v[32:33], v[222:223], s[30:31]
	s_delay_alu instid0(VALU_DEP_4) | instskip(NEXT) | instid1(VALU_DEP_2)
	v_add_f64 v[8:9], v[14:15], v[8:9]
	v_fma_f64 v[58:59], v[184:185], s[12:13], v[32:33]
	v_fma_f64 v[14:15], v[184:185], s[12:13], -v[32:33]
	s_delay_alu instid0(VALU_DEP_2) | instskip(SKIP_1) | instid1(VALU_DEP_3)
	v_add_f64 v[6:7], v[58:59], v[6:7]
	v_mul_f64 v[58:59], v[224:225], s[28:29]
	v_add_f64 v[10:11], v[14:15], v[10:11]
	s_delay_alu instid0(VALU_DEP_2) | instskip(SKIP_1) | instid1(VALU_DEP_2)
	v_fma_f64 v[60:61], v[182:183], s[0:1], -v[58:59]
	v_fma_f64 v[14:15], v[182:183], s[0:1], v[58:59]
	v_add_f64 v[4:5], v[60:61], v[4:5]
	v_mul_f64 v[60:61], v[226:227], s[28:29]
	s_delay_alu instid0(VALU_DEP_3) | instskip(SKIP_1) | instid1(VALU_DEP_3)
	v_add_f64 v[8:9], v[14:15], v[8:9]
	v_mul_f64 v[14:15], v[204:205], s[24:25]
	v_fma_f64 v[16:17], v[188:189], s[0:1], -v[60:61]
	v_fma_f64 v[244:245], v[188:189], s[0:1], v[60:61]
	s_delay_alu instid0(VALU_DEP_2) | instskip(NEXT) | instid1(VALU_DEP_4)
	v_add_f64 v[10:11], v[16:17], v[10:11]
	v_fma_f64 v[16:17], v[192:193], s[14:15], -v[14:15]
	v_fma_f64 v[14:15], v[192:193], s[14:15], v[14:15]
	s_delay_alu instid0(VALU_DEP_4) | instskip(NEXT) | instid1(VALU_DEP_3)
	v_add_f64 v[6:7], v[244:245], v[6:7]
	v_add_f64 v[16:17], v[16:17], v[24:25]
	v_fma_f64 v[24:25], v[196:197], s[0:1], -v[22:23]
	s_delay_alu instid0(VALU_DEP_4) | instskip(SKIP_2) | instid1(VALU_DEP_4)
	v_add_f64 v[12:13], v[14:15], v[12:13]
	v_fma_f64 v[14:15], v[194:195], s[14:15], -v[20:21]
	v_fma_f64 v[20:21], v[196:197], s[0:1], v[22:23]
	v_add_f64 v[16:17], v[24:25], v[16:17]
	v_mul_f64 v[24:25], v[210:211], s[28:29]
	s_delay_alu instid0(VALU_DEP_4) | instskip(NEXT) | instid1(VALU_DEP_4)
	v_add_f64 v[14:15], v[14:15], v[64:65]
	v_add_f64 v[12:13], v[20:21], v[12:13]
	s_delay_alu instid0(VALU_DEP_3) | instskip(SKIP_2) | instid1(VALU_DEP_3)
	v_fma_f64 v[30:31], v[198:199], s[0:1], v[24:25]
	v_fma_f64 v[20:21], v[198:199], s[0:1], -v[24:25]
	v_mul_f64 v[24:25], v[204:205], s[28:29]
	v_add_f64 v[18:19], v[30:31], v[18:19]
	v_mul_f64 v[30:31], v[212:213], s[36:37]
	s_delay_alu instid0(VALU_DEP_4) | instskip(NEXT) | instid1(VALU_DEP_2)
	v_add_f64 v[14:15], v[20:21], v[14:15]
	v_fma_f64 v[32:33], v[186:187], s[12:13], -v[30:31]
	v_fma_f64 v[20:21], v[186:187], s[12:13], v[30:31]
	v_mul_f64 v[30:31], v[208:209], s[42:43]
	s_delay_alu instid0(VALU_DEP_3) | instskip(SKIP_1) | instid1(VALU_DEP_4)
	v_add_f64 v[16:17], v[32:33], v[16:17]
	v_mul_f64 v[32:33], v[214:215], s[36:37]
	v_add_f64 v[12:13], v[20:21], v[12:13]
	s_delay_alu instid0(VALU_DEP_2) | instskip(SKIP_3) | instid1(VALU_DEP_4)
	v_fma_f64 v[34:35], v[190:191], s[12:13], v[32:33]
	v_fma_f64 v[20:21], v[190:191], s[12:13], -v[32:33]
	v_fma_f64 v[32:33], v[196:197], s[14:15], -v[30:31]
	v_fma_f64 v[30:31], v[196:197], s[14:15], v[30:31]
	v_add_f64 v[18:19], v[34:35], v[18:19]
	v_mul_f64 v[34:35], v[220:221], s[38:39]
	v_add_f64 v[14:15], v[20:21], v[14:15]
	s_delay_alu instid0(VALU_DEP_2) | instskip(SKIP_1) | instid1(VALU_DEP_2)
	v_fma_f64 v[58:59], v[180:181], s[18:19], -v[34:35]
	v_fma_f64 v[20:21], v[180:181], s[18:19], v[34:35]
	v_add_f64 v[16:17], v[58:59], v[16:17]
	v_mul_f64 v[58:59], v[222:223], s[38:39]
	s_delay_alu instid0(VALU_DEP_3) | instskip(NEXT) | instid1(VALU_DEP_2)
	v_add_f64 v[12:13], v[20:21], v[12:13]
	v_fma_f64 v[60:61], v[184:185], s[18:19], v[58:59]
	v_fma_f64 v[20:21], v[184:185], s[18:19], -v[58:59]
	s_delay_alu instid0(VALU_DEP_2) | instskip(SKIP_1) | instid1(VALU_DEP_3)
	v_add_f64 v[18:19], v[60:61], v[18:19]
	v_mul_f64 v[60:61], v[224:225], s[40:41]
	v_add_f64 v[14:15], v[20:21], v[14:15]
	s_delay_alu instid0(VALU_DEP_2) | instskip(SKIP_1) | instid1(VALU_DEP_2)
	v_fma_f64 v[62:63], v[182:183], s[20:21], -v[60:61]
	v_fma_f64 v[20:21], v[182:183], s[20:21], v[60:61]
	v_add_f64 v[16:17], v[62:63], v[16:17]
	v_mul_f64 v[62:63], v[226:227], s[40:41]
	s_delay_alu instid0(VALU_DEP_3) | instskip(SKIP_2) | instid1(VALU_DEP_4)
	v_add_f64 v[12:13], v[20:21], v[12:13]
	v_fma_f64 v[20:21], v[192:193], s[0:1], -v[24:25]
	v_fma_f64 v[24:25], v[192:193], s[0:1], v[24:25]
	v_fma_f64 v[22:23], v[188:189], s[20:21], -v[62:63]
	v_fma_f64 v[244:245], v[188:189], s[20:21], v[62:63]
	s_delay_alu instid0(VALU_DEP_4)
	v_add_f64 v[20:21], v[20:21], v[26:27]
	v_mul_f64 v[26:27], v[206:207], s[28:29]
	v_add_f64 v[24:25], v[24:25], v[68:69]
	v_add_f64 v[14:15], v[22:23], v[14:15]
	;; [unrolled: 1-line block ×4, first 2 shown]
	v_fma_f64 v[22:23], v[194:195], s[0:1], v[26:27]
	v_mul_f64 v[32:33], v[210:211], s[42:43]
	v_fma_f64 v[26:27], v[194:195], s[0:1], -v[26:27]
	v_add_f64 v[24:25], v[30:31], v[24:25]
	s_delay_alu instid0(VALU_DEP_4) | instskip(NEXT) | instid1(VALU_DEP_4)
	v_add_f64 v[22:23], v[22:23], v[66:67]
	v_fma_f64 v[34:35], v[198:199], s[14:15], v[32:33]
	s_delay_alu instid0(VALU_DEP_4) | instskip(SKIP_1) | instid1(VALU_DEP_3)
	v_add_f64 v[26:27], v[26:27], v[228:229]
	v_fma_f64 v[30:31], v[198:199], s[14:15], -v[32:33]
	v_add_f64 v[22:23], v[34:35], v[22:23]
	v_mul_f64 v[34:35], v[212:213], s[40:41]
	s_delay_alu instid0(VALU_DEP_3) | instskip(NEXT) | instid1(VALU_DEP_2)
	v_add_f64 v[26:27], v[30:31], v[26:27]
	v_fma_f64 v[58:59], v[186:187], s[20:21], -v[34:35]
	v_fma_f64 v[30:31], v[186:187], s[20:21], v[34:35]
	v_mul_f64 v[34:35], v[206:207], s[36:37]
	s_delay_alu instid0(VALU_DEP_3) | instskip(SKIP_1) | instid1(VALU_DEP_4)
	v_add_f64 v[20:21], v[58:59], v[20:21]
	v_mul_f64 v[58:59], v[214:215], s[40:41]
	v_add_f64 v[24:25], v[30:31], v[24:25]
	s_delay_alu instid0(VALU_DEP_2) | instskip(SKIP_2) | instid1(VALU_DEP_3)
	v_fma_f64 v[60:61], v[190:191], s[20:21], v[58:59]
	v_fma_f64 v[30:31], v[190:191], s[20:21], -v[58:59]
	v_mul_f64 v[58:59], v[208:209], s[40:41]
	v_add_f64 v[22:23], v[60:61], v[22:23]
	v_mul_f64 v[60:61], v[220:221], s[26:27]
	s_delay_alu instid0(VALU_DEP_4) | instskip(NEXT) | instid1(VALU_DEP_2)
	v_add_f64 v[26:27], v[30:31], v[26:27]
	v_fma_f64 v[62:63], v[180:181], s[16:17], -v[60:61]
	v_fma_f64 v[30:31], v[180:181], s[16:17], v[60:61]
	v_fma_f64 v[60:61], v[196:197], s[20:21], -v[58:59]
	s_delay_alu instid0(VALU_DEP_3) | instskip(SKIP_1) | instid1(VALU_DEP_4)
	v_add_f64 v[20:21], v[62:63], v[20:21]
	v_mul_f64 v[62:63], v[222:223], s[26:27]
	v_add_f64 v[24:25], v[30:31], v[24:25]
	s_delay_alu instid0(VALU_DEP_2) | instskip(SKIP_1) | instid1(VALU_DEP_2)
	v_fma_f64 v[64:65], v[184:185], s[16:17], v[62:63]
	v_fma_f64 v[30:31], v[184:185], s[16:17], -v[62:63]
	v_add_f64 v[22:23], v[64:65], v[22:23]
	v_mul_f64 v[64:65], v[224:225], s[30:31]
	s_delay_alu instid0(VALU_DEP_3) | instskip(NEXT) | instid1(VALU_DEP_2)
	v_add_f64 v[26:27], v[30:31], v[26:27]
	v_fma_f64 v[66:67], v[182:183], s[12:13], -v[64:65]
	v_fma_f64 v[30:31], v[182:183], s[12:13], v[64:65]
	s_delay_alu instid0(VALU_DEP_2) | instskip(SKIP_1) | instid1(VALU_DEP_3)
	v_add_f64 v[20:21], v[66:67], v[20:21]
	v_mul_f64 v[66:67], v[226:227], s[30:31]
	v_add_f64 v[24:25], v[30:31], v[24:25]
	s_delay_alu instid0(VALU_DEP_2) | instskip(SKIP_1) | instid1(VALU_DEP_2)
	v_fma_f64 v[32:33], v[188:189], s[12:13], -v[66:67]
	v_fma_f64 v[244:245], v[188:189], s[12:13], v[66:67]
	v_add_f64 v[26:27], v[32:33], v[26:27]
	v_mul_f64 v[32:33], v[204:205], s[36:37]
	s_delay_alu instid0(VALU_DEP_3) | instskip(NEXT) | instid1(VALU_DEP_2)
	v_add_f64 v[22:23], v[244:245], v[22:23]
	v_fma_f64 v[30:31], v[192:193], s[12:13], -v[32:33]
	v_fma_f64 v[32:33], v[192:193], s[12:13], v[32:33]
	s_delay_alu instid0(VALU_DEP_2) | instskip(SKIP_2) | instid1(VALU_DEP_4)
	v_add_f64 v[28:29], v[30:31], v[28:29]
	v_fma_f64 v[30:31], v[194:195], s[12:13], v[34:35]
	v_fma_f64 v[34:35], v[194:195], s[12:13], -v[34:35]
	v_add_f64 v[32:33], v[32:33], v[230:231]
	s_delay_alu instid0(VALU_DEP_4) | instskip(SKIP_4) | instid1(VALU_DEP_4)
	v_add_f64 v[28:29], v[60:61], v[28:29]
	v_mul_f64 v[60:61], v[210:211], s[40:41]
	v_add_f64 v[30:31], v[30:31], v[70:71]
	v_add_f64 v[34:35], v[34:35], v[56:57]
	v_fma_f64 v[56:57], v[196:197], s[20:21], v[58:59]
	v_fma_f64 v[62:63], v[198:199], s[20:21], v[60:61]
	s_delay_alu instid0(VALU_DEP_2) | instskip(SKIP_2) | instid1(VALU_DEP_4)
	v_add_f64 v[32:33], v[56:57], v[32:33]
	v_fma_f64 v[56:57], v[198:199], s[20:21], -v[60:61]
	v_mul_f64 v[60:61], v[204:205], s[38:39]
	v_add_f64 v[30:31], v[62:63], v[30:31]
	v_mul_f64 v[62:63], v[212:213], s[34:35]
	s_delay_alu instid0(VALU_DEP_4) | instskip(NEXT) | instid1(VALU_DEP_2)
	v_add_f64 v[34:35], v[56:57], v[34:35]
	v_fma_f64 v[64:65], v[186:187], s[18:19], -v[62:63]
	v_fma_f64 v[56:57], v[186:187], s[18:19], v[62:63]
	v_mul_f64 v[62:63], v[206:207], s[38:39]
	s_delay_alu instid0(VALU_DEP_3) | instskip(SKIP_1) | instid1(VALU_DEP_4)
	v_add_f64 v[28:29], v[64:65], v[28:29]
	v_mul_f64 v[64:65], v[214:215], s[34:35]
	v_add_f64 v[32:33], v[56:57], v[32:33]
	s_delay_alu instid0(VALU_DEP_2) | instskip(SKIP_2) | instid1(VALU_DEP_3)
	v_fma_f64 v[66:67], v[190:191], s[18:19], v[64:65]
	v_fma_f64 v[56:57], v[190:191], s[18:19], -v[64:65]
	v_mul_f64 v[64:65], v[208:209], s[26:27]
	v_add_f64 v[30:31], v[66:67], v[30:31]
	v_mul_f64 v[66:67], v[220:221], s[46:47]
	s_delay_alu instid0(VALU_DEP_4) | instskip(NEXT) | instid1(VALU_DEP_2)
	v_add_f64 v[34:35], v[56:57], v[34:35]
	v_fma_f64 v[68:69], v[180:181], s[0:1], -v[66:67]
	v_fma_f64 v[56:57], v[180:181], s[0:1], v[66:67]
	v_fma_f64 v[66:67], v[196:197], s[16:17], -v[64:65]
	v_fma_f64 v[64:65], v[196:197], s[16:17], v[64:65]
	s_delay_alu instid0(VALU_DEP_4) | instskip(SKIP_2) | instid1(VALU_DEP_2)
	v_add_f64 v[28:29], v[68:69], v[28:29]
	v_mul_f64 v[68:69], v[222:223], s[46:47]
	v_add_f64 v[32:33], v[56:57], v[32:33]
	v_fma_f64 v[70:71], v[184:185], s[0:1], v[68:69]
	v_fma_f64 v[56:57], v[184:185], s[0:1], -v[68:69]
	s_delay_alu instid0(VALU_DEP_2) | instskip(SKIP_1) | instid1(VALU_DEP_3)
	v_add_f64 v[30:31], v[70:71], v[30:31]
	v_mul_f64 v[70:71], v[224:225], s[44:45]
	v_add_f64 v[34:35], v[56:57], v[34:35]
	s_delay_alu instid0(VALU_DEP_2) | instskip(SKIP_1) | instid1(VALU_DEP_2)
	v_fma_f64 v[228:229], v[182:183], s[16:17], -v[70:71]
	v_fma_f64 v[56:57], v[182:183], s[16:17], v[70:71]
	v_add_f64 v[28:29], v[228:229], v[28:29]
	v_mul_f64 v[228:229], v[226:227], s[44:45]
	s_delay_alu instid0(VALU_DEP_3) | instskip(SKIP_2) | instid1(VALU_DEP_4)
	v_add_f64 v[32:33], v[56:57], v[32:33]
	v_fma_f64 v[56:57], v[192:193], s[18:19], -v[60:61]
	v_fma_f64 v[60:61], v[192:193], s[18:19], v[60:61]
	v_fma_f64 v[58:59], v[188:189], s[16:17], -v[228:229]
	v_fma_f64 v[244:245], v[188:189], s[16:17], v[228:229]
	s_delay_alu instid0(VALU_DEP_4) | instskip(NEXT) | instid1(VALU_DEP_4)
	v_add_f64 v[56:57], v[56:57], v[236:237]
	v_add_f64 v[60:61], v[60:61], v[218:219]
	v_add_f64 v[218:219], v[74:75], -v[102:103]
	v_add_f64 v[34:35], v[58:59], v[34:35]
	v_fma_f64 v[58:59], v[194:195], s[18:19], v[62:63]
	v_add_f64 v[56:57], v[66:67], v[56:57]
	v_mul_f64 v[66:67], v[210:211], s[26:27]
	v_fma_f64 v[62:63], v[194:195], s[18:19], -v[62:63]
	v_add_f64 v[60:61], v[64:65], v[60:61]
	v_add_f64 v[30:31], v[244:245], v[30:31]
	v_mul_f64 v[148:149], v[218:219], s[28:29]
	v_add_f64 v[58:59], v[58:59], v[238:239]
	v_fma_f64 v[68:69], v[198:199], s[16:17], v[66:67]
	v_add_f64 v[62:63], v[62:63], v[216:217]
	v_fma_f64 v[64:65], v[198:199], s[16:17], -v[66:67]
	s_delay_alu instid0(VALU_DEP_3) | instskip(SKIP_1) | instid1(VALU_DEP_3)
	v_add_f64 v[58:59], v[68:69], v[58:59]
	v_mul_f64 v[68:69], v[212:213], s[46:47]
	v_add_f64 v[62:63], v[64:65], v[62:63]
	s_delay_alu instid0(VALU_DEP_2) | instskip(SKIP_2) | instid1(VALU_DEP_3)
	v_fma_f64 v[70:71], v[186:187], s[0:1], -v[68:69]
	v_fma_f64 v[64:65], v[186:187], s[0:1], v[68:69]
	v_mul_f64 v[68:69], v[204:205], s[40:41]
	v_add_f64 v[56:57], v[70:71], v[56:57]
	v_mul_f64 v[70:71], v[214:215], s[46:47]
	s_delay_alu instid0(VALU_DEP_4) | instskip(NEXT) | instid1(VALU_DEP_2)
	v_add_f64 v[60:61], v[64:65], v[60:61]
	v_fma_f64 v[228:229], v[190:191], s[0:1], v[70:71]
	v_fma_f64 v[64:65], v[190:191], s[0:1], -v[70:71]
	v_mul_f64 v[70:71], v[206:207], s[40:41]
	s_delay_alu instid0(VALU_DEP_3) | instskip(SKIP_1) | instid1(VALU_DEP_4)
	v_add_f64 v[58:59], v[228:229], v[58:59]
	v_mul_f64 v[228:229], v[220:221], s[40:41]
	v_add_f64 v[62:63], v[64:65], v[62:63]
	s_delay_alu instid0(VALU_DEP_2) | instskip(SKIP_1) | instid1(VALU_DEP_2)
	v_fma_f64 v[230:231], v[180:181], s[20:21], -v[228:229]
	v_fma_f64 v[64:65], v[180:181], s[20:21], v[228:229]
	v_add_f64 v[56:57], v[230:231], v[56:57]
	v_mul_f64 v[230:231], v[222:223], s[40:41]
	s_delay_alu instid0(VALU_DEP_3) | instskip(NEXT) | instid1(VALU_DEP_2)
	v_add_f64 v[60:61], v[64:65], v[60:61]
	v_fma_f64 v[236:237], v[184:185], s[20:21], v[230:231]
	v_fma_f64 v[64:65], v[184:185], s[20:21], -v[230:231]
	v_add_f64 v[230:231], v[80:81], -v[40:41]
	s_delay_alu instid0(VALU_DEP_3) | instskip(SKIP_1) | instid1(VALU_DEP_4)
	v_add_f64 v[58:59], v[236:237], v[58:59]
	v_mul_f64 v[236:237], v[224:225], s[24:25]
	v_add_f64 v[62:63], v[64:65], v[62:63]
	s_delay_alu instid0(VALU_DEP_2) | instskip(SKIP_2) | instid1(VALU_DEP_3)
	v_fma_f64 v[238:239], v[182:183], s[14:15], -v[236:237]
	v_fma_f64 v[64:65], v[182:183], s[14:15], v[236:237]
	v_add_f64 v[236:237], v[84:85], -v[98:99]
	v_add_f64 v[56:57], v[238:239], v[56:57]
	v_mul_f64 v[238:239], v[226:227], s[24:25]
	s_delay_alu instid0(VALU_DEP_4) | instskip(SKIP_2) | instid1(VALU_DEP_4)
	v_add_f64 v[60:61], v[64:65], v[60:61]
	v_fma_f64 v[64:65], v[192:193], s[20:21], -v[68:69]
	v_fma_f64 v[68:69], v[192:193], s[20:21], v[68:69]
	v_fma_f64 v[66:67], v[188:189], s[14:15], -v[238:239]
	v_fma_f64 v[244:245], v[188:189], s[14:15], v[238:239]
	s_delay_alu instid0(VALU_DEP_4) | instskip(NEXT) | instid1(VALU_DEP_4)
	v_add_f64 v[64:65], v[64:65], v[202:203]
	v_add_f64 v[68:69], v[68:69], v[178:179]
	v_add_f64 v[238:239], v[96:97], -v[38:39]
	v_add_f64 v[62:63], v[66:67], v[62:63]
	v_fma_f64 v[66:67], v[194:195], s[20:21], v[70:71]
	v_fma_f64 v[70:71], v[194:195], s[20:21], -v[70:71]
	v_add_f64 v[58:59], v[244:245], v[58:59]
	v_add_f64 v[244:245], v[250:251], v[252:253]
	;; [unrolled: 1-line block ×3, first 2 shown]
	v_mul_f64 v[252:253], v[254:255], s[22:23]
	v_add_f64 v[66:67], v[66:67], v[200:201]
	v_mul_f64 v[200:201], v[208:209], s[30:31]
	v_add_f64 v[54:55], v[70:71], v[54:55]
	s_delay_alu instid0(VALU_DEP_2) | instskip(SKIP_1) | instid1(VALU_DEP_2)
	v_fma_f64 v[202:203], v[196:197], s[12:13], -v[200:201]
	v_fma_f64 v[192:193], v[196:197], s[12:13], v[200:201]
	v_add_f64 v[64:65], v[202:203], v[64:65]
	v_mul_f64 v[202:203], v[210:211], s[30:31]
	s_delay_alu instid0(VALU_DEP_3) | instskip(NEXT) | instid1(VALU_DEP_2)
	v_add_f64 v[68:69], v[192:193], v[68:69]
	v_fma_f64 v[204:205], v[198:199], s[12:13], v[202:203]
	v_fma_f64 v[194:195], v[198:199], s[12:13], -v[202:203]
	v_mul_f64 v[198:199], v[218:219], s[34:35]
	s_delay_alu instid0(VALU_DEP_3) | instskip(SKIP_1) | instid1(VALU_DEP_4)
	v_add_f64 v[66:67], v[204:205], v[66:67]
	v_mul_f64 v[204:205], v[212:213], s[44:45]
	v_add_f64 v[54:55], v[194:195], v[54:55]
	s_delay_alu instid0(VALU_DEP_2) | instskip(SKIP_1) | instid1(VALU_DEP_2)
	v_fma_f64 v[206:207], v[186:187], s[16:17], -v[204:205]
	v_fma_f64 v[70:71], v[186:187], s[16:17], v[204:205]
	v_add_f64 v[64:65], v[206:207], v[64:65]
	v_mul_f64 v[206:207], v[214:215], s[44:45]
	v_mul_f64 v[214:215], v[226:227], s[38:39]
	s_delay_alu instid0(VALU_DEP_4) | instskip(SKIP_1) | instid1(VALU_DEP_4)
	v_add_f64 v[68:69], v[70:71], v[68:69]
	v_add_f64 v[226:227], v[72:73], -v[50:51]
	v_fma_f64 v[208:209], v[190:191], s[16:17], v[206:207]
	v_fma_f64 v[178:179], v[190:191], s[16:17], -v[206:207]
	s_delay_alu instid0(VALU_DEP_2) | instskip(SKIP_1) | instid1(VALU_DEP_3)
	v_add_f64 v[66:67], v[208:209], v[66:67]
	v_mul_f64 v[208:209], v[220:221], s[24:25]
	v_add_f64 v[54:55], v[178:179], v[54:55]
	v_fma_f64 v[178:179], v[188:189], s[18:19], -v[214:215]
	s_delay_alu instid0(VALU_DEP_3) | instskip(SKIP_1) | instid1(VALU_DEP_2)
	v_fma_f64 v[210:211], v[180:181], s[14:15], -v[208:209]
	v_fma_f64 v[180:181], v[180:181], s[14:15], v[208:209]
	v_add_f64 v[64:65], v[210:211], v[64:65]
	v_mul_f64 v[210:211], v[222:223], s[24:25]
	s_delay_alu instid0(VALU_DEP_3) | instskip(NEXT) | instid1(VALU_DEP_2)
	v_add_f64 v[68:69], v[180:181], v[68:69]
	v_fma_f64 v[212:213], v[184:185], s[14:15], v[210:211]
	v_fma_f64 v[184:185], v[184:185], s[14:15], -v[210:211]
	s_delay_alu instid0(VALU_DEP_2) | instskip(SKIP_1) | instid1(VALU_DEP_3)
	v_add_f64 v[66:67], v[212:213], v[66:67]
	v_mul_f64 v[212:213], v[224:225], s[38:39]
	v_add_f64 v[54:55], v[184:185], v[54:55]
	s_delay_alu instid0(VALU_DEP_2) | instskip(SKIP_2) | instid1(VALU_DEP_3)
	v_fma_f64 v[70:71], v[182:183], s[18:19], v[212:213]
	v_fma_f64 v[216:217], v[182:183], s[18:19], -v[212:213]
	v_add_f64 v[212:213], v[46:47], -v[42:43]
	v_add_f64 v[68:69], v[70:71], v[68:69]
	v_add_f64 v[70:71], v[178:179], v[54:55]
	v_fma_f64 v[54:55], v[244:245], s[20:21], v[246:247]
	v_mul_f64 v[178:179], v[226:227], s[26:27]
	v_add_f64 v[64:65], v[216:217], v[64:65]
	v_fma_f64 v[216:217], v[188:189], s[18:19], v[214:215]
	v_mul_f64 v[88:89], v[212:213], s[24:25]
	v_add_f64 v[180:181], v[0:1], v[54:55]
	v_add_f64 v[54:55], v[46:47], v[42:43]
	v_dual_mov_b32 v42, v78 :: v_dual_mov_b32 v43, v79
	v_add_f64 v[66:67], v[216:217], v[66:67]
	s_delay_alu instid0(VALU_DEP_2) | instskip(SKIP_2) | instid1(VALU_DEP_3)
	v_add_f64 v[228:229], v[76:77], -v[42:43]
	v_add_f64 v[196:197], v[76:77], v[42:43]
	v_fma_f64 v[182:183], v[54:55], s[16:17], v[178:179]
	v_mul_f64 v[90:91], v[228:229], s[28:29]
	s_delay_alu instid0(VALU_DEP_2) | instskip(SKIP_2) | instid1(VALU_DEP_2)
	v_add_f64 v[188:189], v[182:183], v[180:181]
	v_fma_f64 v[180:181], v[250:251], s[20:21], -v[252:253]
	v_mul_f64 v[182:183], v[212:213], s[26:27]
	v_add_f64 v[184:185], v[2:3], v[180:181]
	v_add_f64 v[180:181], v[72:73], v[50:51]
	s_delay_alu instid0(VALU_DEP_1) | instskip(NEXT) | instid1(VALU_DEP_1)
	v_fma_f64 v[186:187], v[180:181], s[16:17], -v[182:183]
	v_add_f64 v[190:191], v[186:187], v[184:185]
	v_add_f64 v[184:185], v[74:75], v[102:103]
	s_clause 0x1
	scratch_load_b64 v[74:75], off, off offset:472
	scratch_load_b64 v[78:79], off, off offset:480
	v_mul_f64 v[186:187], v[228:229], s[34:35]
	s_clause 0x4
	scratch_store_b64 off, v[100:101], off offset:608
	scratch_store_b64 off, v[36:37], off offset:576
	;; [unrolled: 1-line block ×5, first 2 shown]
	v_fma_f64 v[192:193], v[184:185], s[18:19], v[186:187]
	s_delay_alu instid0(VALU_DEP_1) | instskip(SKIP_1) | instid1(VALU_DEP_1)
	v_add_f64 v[192:193], v[192:193], v[188:189]
	v_fma_f64 v[188:189], v[196:197], s[18:19], -v[198:199]
	v_add_f64 v[194:195], v[188:189], v[190:191]
	v_mul_f64 v[190:191], v[230:231], s[24:25]
	s_waitcnt vmcnt(1)
	v_add_f64 v[188:189], v[74:75], v[100:101]
	v_add_f64 v[220:221], v[74:75], -v[100:101]
	s_waitcnt vmcnt(0)
	v_add_f64 v[222:223], v[78:79], -v[36:37]
	s_delay_alu instid0(VALU_DEP_3) | instskip(NEXT) | instid1(VALU_DEP_3)
	v_fma_f64 v[200:201], v[188:189], s[14:15], v[190:191]
	v_mul_f64 v[202:203], v[220:221], s[24:25]
	s_delay_alu instid0(VALU_DEP_3) | instskip(NEXT) | instid1(VALU_DEP_3)
	v_mul_f64 v[210:211], v[222:223], s[30:31]
	v_add_f64 v[204:205], v[200:201], v[192:193]
	v_add_f64 v[200:201], v[80:81], v[40:41]
	s_delay_alu instid0(VALU_DEP_1) | instskip(NEXT) | instid1(VALU_DEP_1)
	v_fma_f64 v[192:193], v[200:201], s[14:15], -v[202:203]
	v_add_f64 v[206:207], v[192:193], v[194:195]
	v_add_f64 v[192:193], v[78:79], v[36:37]
	v_mul_f64 v[194:195], v[236:237], s[30:31]
	s_delay_alu instid0(VALU_DEP_1) | instskip(NEXT) | instid1(VALU_DEP_1)
	v_fma_f64 v[208:209], v[192:193], s[12:13], v[194:195]
	v_add_f64 v[214:215], v[208:209], v[204:205]
	v_add_f64 v[208:209], v[84:85], v[98:99]
	scratch_load_b64 v[98:99], off, off offset:464 ; 8-byte Folded Reload
	v_fma_f64 v[204:205], v[208:209], s[12:13], -v[210:211]
	s_delay_alu instid0(VALU_DEP_1) | instskip(SKIP_4) | instid1(VALU_DEP_2)
	v_add_f64 v[46:47], v[204:205], v[206:207]
	v_mul_f64 v[206:207], v[238:239], s[28:29]
	s_waitcnt vmcnt(0)
	v_add_f64 v[204:205], v[82:83], v[98:99]
	v_add_f64 v[224:225], v[82:83], -v[98:99]
	v_fma_f64 v[216:217], v[204:205], s[0:1], v[206:207]
	s_delay_alu instid0(VALU_DEP_2) | instskip(NEXT) | instid1(VALU_DEP_2)
	v_mul_f64 v[150:151], v[224:225], s[40:41]
	v_add_f64 v[36:37], v[216:217], v[214:215]
	v_add_f64 v[214:215], v[96:97], v[38:39]
	v_mul_f64 v[216:217], v[224:225], s[28:29]
	v_dual_mov_b32 v97, v39 :: v_dual_mov_b32 v96, v38
	s_delay_alu instid0(VALU_DEP_2) | instskip(NEXT) | instid1(VALU_DEP_1)
	v_fma_f64 v[72:73], v[214:215], s[0:1], -v[216:217]
	v_add_f64 v[38:39], v[72:73], v[46:47]
	v_add_f64 v[46:47], v[242:243], v[94:95]
	v_fma_f64 v[72:73], v[180:181], s[14:15], -v[88:89]
	v_mul_f64 v[94:95], v[230:231], s[36:37]
	s_clause 0x1
	scratch_store_b64 off, v[82:83], off offset:528
	scratch_store_b128 off, v[36:39], off offset:8
	v_add_f64 v[46:47], v[46:47], v[152:153]
	v_mul_f64 v[152:153], v[222:223], s[38:39]
	s_delay_alu instid0(VALU_DEP_2) | instskip(SKIP_2) | instid1(VALU_DEP_3)
	v_add_f64 v[46:47], v[46:47], v[158:159]
	v_add_f64 v[158:159], v[44:45], v[146:147]
	v_mul_f64 v[146:147], v[220:221], s[36:37]
	v_add_f64 v[46:47], v[46:47], v[164:165]
	s_delay_alu instid0(VALU_DEP_1) | instskip(NEXT) | instid1(VALU_DEP_1)
	v_add_f64 v[46:47], v[46:47], v[168:169]
	v_add_f64 v[46:47], v[46:47], v[172:173]
	s_delay_alu instid0(VALU_DEP_1) | instskip(NEXT) | instid1(VALU_DEP_1)
	v_add_f64 v[46:47], v[46:47], v[176:177]
	v_add_f64 v[46:47], v[46:47], v[154:155]
	v_mul_f64 v[154:155], v[248:249], s[26:27]
	s_delay_alu instid0(VALU_DEP_2) | instskip(NEXT) | instid1(VALU_DEP_2)
	v_add_f64 v[46:47], v[46:47], v[86:87]
	v_fma_f64 v[44:45], v[244:245], s[16:17], v[154:155]
	v_mul_f64 v[86:87], v[226:227], s[24:25]
	s_delay_alu instid0(VALU_DEP_3) | instskip(NEXT) | instid1(VALU_DEP_3)
	v_add_f64 v[46:47], v[46:47], v[92:93]
	v_add_f64 v[44:45], v[0:1], v[44:45]
	v_mul_f64 v[92:93], v[238:239], s[40:41]
	s_delay_alu instid0(VALU_DEP_3) | instskip(SKIP_2) | instid1(VALU_DEP_2)
	v_add_f64 v[160:161], v[46:47], v[144:145]
	v_fma_f64 v[46:47], v[54:55], s[14:15], v[86:87]
	v_mul_f64 v[144:145], v[236:237], s[38:39]
	v_add_f64 v[44:45], v[46:47], v[44:45]
	v_fma_f64 v[46:47], v[250:251], s[16:17], -v[156:157]
	s_delay_alu instid0(VALU_DEP_1) | instskip(NEXT) | instid1(VALU_DEP_1)
	v_add_f64 v[46:47], v[2:3], v[46:47]
	v_add_f64 v[46:47], v[72:73], v[46:47]
	v_fma_f64 v[72:73], v[184:185], s[0:1], v[90:91]
	s_delay_alu instid0(VALU_DEP_1) | instskip(SKIP_1) | instid1(VALU_DEP_1)
	v_add_f64 v[44:45], v[72:73], v[44:45]
	v_fma_f64 v[72:73], v[196:197], s[0:1], -v[148:149]
	v_add_f64 v[46:47], v[72:73], v[46:47]
	v_fma_f64 v[72:73], v[188:189], s[12:13], v[94:95]
	s_delay_alu instid0(VALU_DEP_1) | instskip(SKIP_1) | instid1(VALU_DEP_1)
	v_add_f64 v[44:45], v[72:73], v[44:45]
	v_fma_f64 v[72:73], v[200:201], s[12:13], -v[146:147]
	;; [unrolled: 5-line block ×4, first 2 shown]
	v_add_f64 v[38:39], v[44:45], v[46:47]
	scratch_store_b128 off, v[36:39], off offset:24 ; 16-byte Folded Spill
	scratch_load_b32 v36, off, off          ; 4-byte Folded Reload
	s_waitcnt vmcnt(0)
	v_lshrrev_b32_e32 v44, 2, v36
	scratch_load_b32 v36, off, off offset:4 ; 4-byte Folded Reload
	s_waitcnt vmcnt(0)
	s_waitcnt_vscnt null, 0x0
	s_barrier
	buffer_gl0_inv
	v_mul_u32_u24_e32 v44, 52, v44
	s_delay_alu instid0(VALU_DEP_1) | instskip(NEXT) | instid1(VALU_DEP_1)
	v_or_b32_e32 v44, v44, v36
	v_lshlrev_b32_e32 v243, 4, v44
	ds_store_b128 v243, v[16:19] offset:128
	ds_store_b128 v243, v[20:23] offset:192
	;; [unrolled: 1-line block ×12, first 2 shown]
	ds_store_b128 v243, v[158:161]
	v_lshrrev_b32_e32 v4, 2, v241
	scratch_store_b32 off, v4, off offset:436 ; 4-byte Folded Spill
	s_and_saveexec_b32 s33, vcc_lo
	s_cbranch_execz .LBB0_5
; %bb.4:
	v_mul_f64 v[8:9], v[250:251], s[12:13]
	v_mul_f64 v[4:5], v[250:251], s[0:1]
	;; [unrolled: 1-line block ×12, first 2 shown]
	v_add_f64 v[62:63], v[0:1], v[48:49]
	v_add_f64 v[60:61], v[2:3], v[106:107]
	v_mul_f64 v[158:159], v[238:239], s[24:25]
	v_mul_f64 v[160:161], v[180:181], s[12:13]
	v_mul_f64 v[174:175], v[238:239], s[44:45]
	v_mul_f64 v[176:177], v[214:215], s[16:17]
	s_clause 0x1
	scratch_load_b64 v[36:37], off, off offset:496
	scratch_load_b64 v[38:39], off, off offset:592
	v_fma_f64 v[10:11], v[254:255], s[36:37], v[8:9]
	v_fma_f64 v[8:9], v[254:255], s[30:31], v[8:9]
	;; [unrolled: 1-line block ×6, first 2 shown]
	v_add_f64 v[20:21], v[156:157], v[20:21]
	v_add_f64 v[22:23], v[22:23], -v[154:155]
	v_fma_f64 v[34:35], v[244:245], s[0:1], v[26:27]
	v_fma_f64 v[26:27], v[244:245], s[0:1], -v[26:27]
	v_fma_f64 v[44:45], v[244:245], s[12:13], v[28:29]
	v_fma_f64 v[28:29], v[244:245], s[12:13], -v[28:29]
	;; [unrolled: 2-line block ×4, first 2 shown]
	v_add_f64 v[58:59], v[58:59], -v[246:247]
	v_fma_f64 v[4:5], v[254:255], s[28:29], v[4:5]
	v_fma_f64 v[16:17], v[254:255], s[34:35], v[16:17]
	v_add_f64 v[24:25], v[252:253], v[24:25]
	v_mul_f64 v[154:155], v[214:215], s[18:19]
	v_mul_f64 v[156:157], v[238:239], s[38:39]
	v_add_f64 v[10:11], v[2:3], v[10:11]
	v_add_f64 v[64:65], v[2:3], v[8:9]
	v_mul_f64 v[8:9], v[180:181], s[20:21]
	v_add_f64 v[6:7], v[2:3], v[6:7]
	v_add_f64 v[66:67], v[2:3], v[14:15]
	;; [unrolled: 1-line block ×15, first 2 shown]
	v_mul_f64 v[20:21], v[196:197], s[12:13]
	v_add_f64 v[4:5], v[2:3], v[4:5]
	v_add_f64 v[16:17], v[2:3], v[16:17]
	;; [unrolled: 1-line block ×3, first 2 shown]
	v_fma_f64 v[0:1], v[212:213], s[22:23], v[8:9]
	v_fma_f64 v[8:9], v[212:213], s[40:41], v[8:9]
	;; [unrolled: 1-line block ×3, first 2 shown]
	s_delay_alu instid0(VALU_DEP_3) | instskip(SKIP_1) | instid1(VALU_DEP_4)
	v_add_f64 v[0:1], v[0:1], v[6:7]
	v_mul_f64 v[6:7], v[226:227], s[40:41]
	v_add_f64 v[4:5], v[8:9], v[4:5]
	v_fma_f64 v[8:9], v[218:219], s[30:31], v[20:21]
	v_fma_f64 v[20:21], v[204:205], s[18:19], -v[156:157]
	v_add_f64 v[0:1], v[22:23], v[0:1]
	v_fma_f64 v[2:3], v[54:55], s[20:21], v[6:7]
	v_mul_f64 v[22:23], v[228:229], s[30:31]
	v_fma_f64 v[6:7], v[54:55], s[20:21], -v[6:7]
	v_add_f64 v[4:5], v[8:9], v[4:5]
	s_delay_alu instid0(VALU_DEP_4) | instskip(NEXT) | instid1(VALU_DEP_4)
	v_add_f64 v[2:3], v[2:3], v[34:35]
	v_fma_f64 v[24:25], v[184:185], s[12:13], v[22:23]
	s_delay_alu instid0(VALU_DEP_4)
	v_add_f64 v[6:7], v[6:7], v[26:27]
	v_fma_f64 v[8:9], v[184:185], s[12:13], -v[22:23]
	v_mul_f64 v[26:27], v[226:227], s[38:39]
	v_mul_f64 v[22:23], v[180:181], s[14:15]
	v_add_f64 v[2:3], v[24:25], v[2:3]
	v_mul_f64 v[24:25], v[200:201], s[16:17]
	v_add_f64 v[6:7], v[8:9], v[6:7]
	s_delay_alu instid0(VALU_DEP_4) | instskip(SKIP_1) | instid1(VALU_DEP_4)
	v_add_f64 v[22:23], v[88:89], v[22:23]
	v_mul_f64 v[88:89], v[184:185], s[0:1]
	v_fma_f64 v[32:33], v[220:221], s[26:27], v[24:25]
	v_fma_f64 v[8:9], v[220:221], s[44:45], v[24:25]
	v_mul_f64 v[24:25], v[180:181], s[18:19]
	v_add_f64 v[12:13], v[22:23], v[12:13]
	v_add_f64 v[88:89], v[88:89], -v[90:91]
	v_mul_f64 v[90:91], v[54:55], s[14:15]
	v_mul_f64 v[22:23], v[192:193], s[18:19]
	v_add_f64 v[0:1], v[32:33], v[0:1]
	v_mul_f64 v[32:33], v[230:231], s[44:45]
	v_add_f64 v[4:5], v[8:9], v[4:5]
	v_add_f64 v[86:87], v[90:91], -v[86:87]
	v_mul_f64 v[90:91], v[200:201], s[12:13]
	v_add_f64 v[22:23], v[22:23], -v[144:145]
	v_mul_f64 v[144:145], v[230:231], s[40:41]
	v_fma_f64 v[34:35], v[188:189], s[16:17], v[32:33]
	v_fma_f64 v[8:9], v[188:189], s[16:17], -v[32:33]
	v_mul_f64 v[32:33], v[196:197], s[16:17]
	v_add_f64 v[14:15], v[86:87], v[14:15]
	v_add_f64 v[90:91], v[146:147], v[90:91]
	v_mul_f64 v[146:147], v[188:189], s[12:13]
	v_mul_f64 v[86:87], v[204:205], s[20:21]
	v_add_f64 v[2:3], v[34:35], v[2:3]
	v_mul_f64 v[34:35], v[208:209], s[14:15]
	v_add_f64 v[6:7], v[8:9], v[6:7]
	v_add_f64 v[14:15], v[88:89], v[14:15]
	v_mul_f64 v[88:89], v[226:227], s[28:29]
	v_add_f64 v[94:95], v[146:147], -v[94:95]
	v_mul_f64 v[146:147], v[208:209], s[18:19]
	v_add_f64 v[86:87], v[86:87], -v[92:93]
	v_mul_f64 v[92:93], v[228:229], s[42:43]
	v_fma_f64 v[82:83], v[222:223], s[42:43], v[34:35]
	v_fma_f64 v[8:9], v[222:223], s[24:25], v[34:35]
	v_mul_f64 v[34:35], v[228:229], s[26:27]
	v_add_f64 v[14:15], v[94:95], v[14:15]
	v_add_f64 v[146:147], v[152:153], v[146:147]
	v_mul_f64 v[94:95], v[200:201], s[20:21]
	v_mul_f64 v[152:153], v[238:239], s[30:31]
	v_add_f64 v[0:1], v[82:83], v[0:1]
	v_mul_f64 v[82:83], v[236:237], s[24:25]
	v_add_f64 v[4:5], v[8:9], v[4:5]
	v_add_f64 v[22:23], v[22:23], v[14:15]
	s_delay_alu instid0(VALU_DEP_3) | instskip(SKIP_2) | instid1(VALU_DEP_3)
	v_fma_f64 v[8:9], v[192:193], s[14:15], -v[82:83]
	v_fma_f64 v[84:85], v[192:193], s[14:15], v[82:83]
	v_mul_f64 v[82:83], v[230:231], s[46:47]
	v_add_f64 v[8:9], v[8:9], v[6:7]
	v_fma_f64 v[6:7], v[224:225], s[38:39], v[154:155]
	s_delay_alu instid0(VALU_DEP_4) | instskip(SKIP_2) | instid1(VALU_DEP_4)
	v_add_f64 v[84:85], v[84:85], v[2:3]
	v_fma_f64 v[2:3], v[224:225], s[34:35], v[154:155]
	v_mul_f64 v[154:155], v[236:237], s[40:41]
	v_add_f64 v[6:7], v[6:7], v[4:5]
	v_add_f64 v[4:5], v[20:21], v[8:9]
	v_fma_f64 v[8:9], v[212:213], s[34:35], v[24:25]
	v_fma_f64 v[20:21], v[218:219], s[44:45], v[32:33]
	v_add_f64 v[2:3], v[2:3], v[0:1]
	v_fma_f64 v[0:1], v[204:205], s[18:19], v[156:157]
	v_mul_f64 v[156:157], v[214:215], s[14:15]
	v_fma_f64 v[24:25], v[212:213], s[38:39], v[24:25]
	v_add_f64 v[8:9], v[8:9], v[10:11]
	v_fma_f64 v[10:11], v[54:55], s[18:19], v[26:27]
	v_fma_f64 v[26:27], v[54:55], s[18:19], -v[26:27]
	v_add_f64 v[0:1], v[0:1], v[84:85]
	v_mul_f64 v[84:85], v[208:209], s[20:21]
	v_add_f64 v[24:25], v[24:25], v[64:65]
	v_mul_f64 v[64:65], v[188:189], s[14:15]
	v_add_f64 v[8:9], v[20:21], v[8:9]
	v_add_f64 v[10:11], v[10:11], v[44:45]
	v_fma_f64 v[20:21], v[184:185], s[16:17], v[34:35]
	v_mul_f64 v[44:45], v[200:201], s[0:1]
	v_add_f64 v[26:27], v[26:27], v[28:29]
	v_fma_f64 v[28:29], v[218:219], s[26:27], v[32:33]
	v_fma_f64 v[32:33], v[204:205], s[14:15], -v[158:159]
	v_add_f64 v[64:65], v[64:65], -v[190:191]
	v_add_f64 v[10:11], v[20:21], v[10:11]
	v_fma_f64 v[20:21], v[220:221], s[28:29], v[44:45]
	v_add_f64 v[24:25], v[28:29], v[24:25]
	v_fma_f64 v[28:29], v[184:185], s[16:17], -v[34:35]
	v_fma_f64 v[34:35], v[204:205], s[16:17], v[174:175]
	s_delay_alu instid0(VALU_DEP_4) | instskip(SKIP_1) | instid1(VALU_DEP_4)
	v_add_f64 v[8:9], v[20:21], v[8:9]
	v_fma_f64 v[20:21], v[188:189], s[0:1], v[82:83]
	v_add_f64 v[26:27], v[28:29], v[26:27]
	v_fma_f64 v[28:29], v[220:221], s[46:47], v[44:45]
	v_fma_f64 v[44:45], v[54:55], s[0:1], v[88:89]
	s_delay_alu instid0(VALU_DEP_4) | instskip(SKIP_1) | instid1(VALU_DEP_4)
	v_add_f64 v[10:11], v[20:21], v[10:11]
	v_fma_f64 v[20:21], v[222:223], s[22:23], v[84:85]
	v_add_f64 v[24:25], v[28:29], v[24:25]
	v_fma_f64 v[28:29], v[188:189], s[0:1], -v[82:83]
	v_add_f64 v[44:45], v[44:45], v[56:57]
	v_fma_f64 v[56:57], v[204:205], s[12:13], v[152:153]
	v_add_f64 v[8:9], v[20:21], v[8:9]
	v_fma_f64 v[20:21], v[192:193], s[20:21], v[154:155]
	;; [unrolled: 2-line block ×3, first 2 shown]
	s_delay_alu instid0(VALU_DEP_3) | instskip(SKIP_1) | instid1(VALU_DEP_3)
	v_add_f64 v[20:21], v[20:21], v[10:11]
	v_fma_f64 v[10:11], v[224:225], s[42:43], v[156:157]
	v_add_f64 v[24:25], v[28:29], v[24:25]
	v_fma_f64 v[28:29], v[192:193], s[20:21], -v[154:155]
	s_delay_alu instid0(VALU_DEP_3) | instskip(SKIP_1) | instid1(VALU_DEP_3)
	v_add_f64 v[10:11], v[10:11], v[8:9]
	v_fma_f64 v[8:9], v[204:205], s[14:15], v[158:159]
	v_add_f64 v[28:29], v[28:29], v[26:27]
	v_fma_f64 v[26:27], v[224:225], s[24:25], v[156:157]
	s_delay_alu instid0(VALU_DEP_3) | instskip(SKIP_1) | instid1(VALU_DEP_3)
	v_add_f64 v[8:9], v[8:9], v[20:21]
	v_mul_f64 v[20:21], v[196:197], s[0:1]
	v_add_f64 v[26:27], v[26:27], v[24:25]
	v_add_f64 v[24:25], v[32:33], v[28:29]
	v_fma_f64 v[28:29], v[212:213], s[30:31], v[160:161]
	s_delay_alu instid0(VALU_DEP_4) | instskip(SKIP_1) | instid1(VALU_DEP_3)
	v_add_f64 v[20:21], v[148:149], v[20:21]
	v_mul_f64 v[148:149], v[236:237], s[26:27]
	v_add_f64 v[28:29], v[28:29], v[66:67]
	s_delay_alu instid0(VALU_DEP_3) | instskip(SKIP_1) | instid1(VALU_DEP_2)
	v_add_f64 v[12:13], v[20:21], v[12:13]
	v_mul_f64 v[20:21], v[214:215], s[20:21]
	v_add_f64 v[12:13], v[90:91], v[12:13]
	s_delay_alu instid0(VALU_DEP_2) | instskip(SKIP_2) | instid1(VALU_DEP_4)
	v_add_f64 v[20:21], v[150:151], v[20:21]
	v_mul_f64 v[90:91], v[196:197], s[14:15]
	v_mul_f64 v[150:151], v[214:215], s[12:13]
	v_add_f64 v[12:13], v[146:147], v[12:13]
	v_mul_f64 v[146:147], v[208:209], s[16:17]
	s_delay_alu instid0(VALU_DEP_2) | instskip(SKIP_2) | instid1(VALU_DEP_1)
	v_add_f64 v[14:15], v[20:21], v[12:13]
	v_add_f64 v[12:13], v[86:87], v[22:23]
	v_mul_f64 v[86:87], v[180:181], s[0:1]
	v_fma_f64 v[20:21], v[212:213], s[28:29], v[86:87]
	s_delay_alu instid0(VALU_DEP_1) | instskip(SKIP_1) | instid1(VALU_DEP_1)
	v_add_f64 v[16:17], v[20:21], v[16:17]
	v_fma_f64 v[20:21], v[54:55], s[0:1], -v[88:89]
	v_add_f64 v[18:19], v[20:21], v[18:19]
	v_fma_f64 v[20:21], v[218:219], s[42:43], v[90:91]
	s_delay_alu instid0(VALU_DEP_1) | instskip(SKIP_1) | instid1(VALU_DEP_1)
	v_add_f64 v[16:17], v[20:21], v[16:17]
	v_fma_f64 v[20:21], v[184:185], s[14:15], -v[92:93]
	v_add_f64 v[18:19], v[20:21], v[18:19]
	;; [unrolled: 5-line block ×5, first 2 shown]
	v_fma_f64 v[20:21], v[212:213], s[36:37], v[160:161]
	s_delay_alu instid0(VALU_DEP_1) | instskip(SKIP_1) | instid1(VALU_DEP_1)
	v_add_f64 v[20:21], v[20:21], v[68:69]
	v_mul_f64 v[68:69], v[226:227], s[36:37]
	v_fma_f64 v[22:23], v[54:55], s[12:13], -v[68:69]
	v_fma_f64 v[32:33], v[54:55], s[12:13], v[68:69]
	v_mul_f64 v[54:55], v[54:55], s[16:17]
	s_delay_alu instid0(VALU_DEP_3) | instskip(SKIP_1) | instid1(VALU_DEP_4)
	v_add_f64 v[22:23], v[22:23], v[30:31]
	v_mul_f64 v[30:31], v[196:197], s[20:21]
	v_add_f64 v[32:33], v[32:33], v[46:47]
	v_fma_f64 v[46:47], v[220:221], s[22:23], v[94:95]
	v_add_f64 v[54:55], v[54:55], -v[178:179]
	s_delay_alu instid0(VALU_DEP_4) | instskip(SKIP_1) | instid1(VALU_DEP_3)
	v_fma_f64 v[162:163], v[218:219], s[40:41], v[30:31]
	v_fma_f64 v[30:31], v[218:219], s[22:23], v[30:31]
	v_add_f64 v[54:55], v[54:55], v[58:59]
	v_mul_f64 v[58:59], v[200:201], s[14:15]
	s_delay_alu instid0(VALU_DEP_4) | instskip(SKIP_2) | instid1(VALU_DEP_4)
	v_add_f64 v[20:21], v[162:163], v[20:21]
	v_mul_f64 v[162:163], v[228:229], s[40:41]
	v_add_f64 v[28:29], v[30:31], v[28:29]
	v_add_f64 v[58:59], v[202:203], v[58:59]
	s_delay_alu instid0(VALU_DEP_3) | instskip(SKIP_1) | instid1(VALU_DEP_2)
	v_fma_f64 v[164:165], v[184:185], s[20:21], -v[162:163]
	v_fma_f64 v[30:31], v[184:185], s[20:21], v[162:163]
	v_add_f64 v[22:23], v[164:165], v[22:23]
	v_mul_f64 v[164:165], v[200:201], s[18:19]
	s_delay_alu instid0(VALU_DEP_3) | instskip(NEXT) | instid1(VALU_DEP_2)
	v_add_f64 v[30:31], v[30:31], v[32:33]
	v_fma_f64 v[166:167], v[220:221], s[34:35], v[164:165]
	v_fma_f64 v[32:33], v[220:221], s[38:39], v[164:165]
	s_delay_alu instid0(VALU_DEP_2) | instskip(SKIP_1) | instid1(VALU_DEP_3)
	v_add_f64 v[20:21], v[166:167], v[20:21]
	v_mul_f64 v[166:167], v[230:231], s[34:35]
	v_add_f64 v[28:29], v[32:33], v[28:29]
	s_delay_alu instid0(VALU_DEP_2) | instskip(SKIP_1) | instid1(VALU_DEP_2)
	v_fma_f64 v[168:169], v[188:189], s[18:19], -v[166:167]
	v_fma_f64 v[32:33], v[188:189], s[18:19], v[166:167]
	v_add_f64 v[22:23], v[168:169], v[22:23]
	v_mul_f64 v[168:169], v[208:209], s[0:1]
	s_delay_alu instid0(VALU_DEP_3) | instskip(NEXT) | instid1(VALU_DEP_2)
	v_add_f64 v[30:31], v[32:33], v[30:31]
	v_fma_f64 v[170:171], v[222:223], s[46:47], v[168:169]
	v_fma_f64 v[32:33], v[222:223], s[28:29], v[168:169]
	s_delay_alu instid0(VALU_DEP_2) | instskip(SKIP_1) | instid1(VALU_DEP_3)
	v_add_f64 v[20:21], v[170:171], v[20:21]
	v_mul_f64 v[170:171], v[236:237], s[46:47]
	v_add_f64 v[28:29], v[32:33], v[28:29]
	s_delay_alu instid0(VALU_DEP_2) | instskip(SKIP_1) | instid1(VALU_DEP_2)
	v_fma_f64 v[32:33], v[192:193], s[0:1], v[170:171]
	v_fma_f64 v[172:173], v[192:193], s[0:1], -v[170:171]
	v_add_f64 v[32:33], v[32:33], v[30:31]
	v_fma_f64 v[30:31], v[224:225], s[26:27], v[176:177]
	s_delay_alu instid0(VALU_DEP_3) | instskip(SKIP_1) | instid1(VALU_DEP_3)
	v_add_f64 v[172:173], v[172:173], v[22:23]
	v_fma_f64 v[22:23], v[224:225], s[44:45], v[176:177]
	v_add_f64 v[30:31], v[30:31], v[28:29]
	v_add_f64 v[28:29], v[34:35], v[32:33]
	v_fma_f64 v[32:33], v[212:213], s[46:47], v[86:87]
	v_fma_f64 v[34:35], v[218:219], s[24:25], v[90:91]
	v_add_f64 v[22:23], v[22:23], v[20:21]
	v_fma_f64 v[20:21], v[204:205], s[16:17], -v[174:175]
	s_delay_alu instid0(VALU_DEP_4) | instskip(NEXT) | instid1(VALU_DEP_2)
	v_add_f64 v[32:33], v[32:33], v[70:71]
	v_add_f64 v[20:21], v[20:21], v[172:173]
	s_delay_alu instid0(VALU_DEP_2) | instskip(SKIP_1) | instid1(VALU_DEP_2)
	v_add_f64 v[32:33], v[34:35], v[32:33]
	v_fma_f64 v[34:35], v[184:185], s[14:15], v[92:93]
	v_add_f64 v[32:33], v[46:47], v[32:33]
	s_delay_alu instid0(VALU_DEP_2) | instskip(SKIP_2) | instid1(VALU_DEP_2)
	v_add_f64 v[34:35], v[34:35], v[44:45]
	v_fma_f64 v[44:45], v[222:223], s[44:45], v[146:147]
	v_fma_f64 v[46:47], v[188:189], s[20:21], v[144:145]
	v_add_f64 v[32:33], v[44:45], v[32:33]
	s_delay_alu instid0(VALU_DEP_2) | instskip(SKIP_2) | instid1(VALU_DEP_1)
	v_add_f64 v[34:35], v[46:47], v[34:35]
	v_fma_f64 v[46:47], v[224:225], s[36:37], v[150:151]
	v_fma_f64 v[44:45], v[192:193], s[16:17], v[148:149]
	v_add_f64 v[44:45], v[44:45], v[34:35]
	s_delay_alu instid0(VALU_DEP_3) | instskip(SKIP_1) | instid1(VALU_DEP_3)
	v_add_f64 v[34:35], v[46:47], v[32:33]
	v_mul_f64 v[46:47], v[180:181], s[16:17]
	v_add_f64 v[32:33], v[56:57], v[44:45]
	v_mul_f64 v[44:45], v[196:197], s[18:19]
	s_delay_alu instid0(VALU_DEP_3) | instskip(SKIP_1) | instid1(VALU_DEP_3)
	v_add_f64 v[46:47], v[182:183], v[46:47]
	v_mul_f64 v[56:57], v[184:185], s[18:19]
	v_add_f64 v[44:45], v[198:199], v[44:45]
	s_delay_alu instid0(VALU_DEP_3) | instskip(NEXT) | instid1(VALU_DEP_3)
	v_add_f64 v[46:47], v[46:47], v[72:73]
	v_add_f64 v[56:57], v[56:57], -v[186:187]
	s_delay_alu instid0(VALU_DEP_2) | instskip(NEXT) | instid1(VALU_DEP_2)
	v_add_f64 v[44:45], v[44:45], v[46:47]
	v_add_f64 v[46:47], v[56:57], v[54:55]
	v_mul_f64 v[54:55], v[208:209], s[12:13]
	v_mul_f64 v[56:57], v[192:193], s[12:13]
	s_delay_alu instid0(VALU_DEP_4) | instskip(SKIP_1) | instid1(VALU_DEP_4)
	v_add_f64 v[44:45], v[58:59], v[44:45]
	v_mul_f64 v[58:59], v[214:215], s[0:1]
	v_add_f64 v[54:55], v[210:211], v[54:55]
	s_delay_alu instid0(VALU_DEP_4) | instskip(SKIP_4) | instid1(VALU_DEP_4)
	v_add_f64 v[56:57], v[56:57], -v[194:195]
	v_add_f64 v[46:47], v[64:65], v[46:47]
	v_mul_f64 v[64:65], v[204:205], s[0:1]
	v_add_f64 v[58:59], v[216:217], v[58:59]
	v_add_f64 v[44:45], v[54:55], v[44:45]
	;; [unrolled: 1-line block ×3, first 2 shown]
	s_delay_alu instid0(VALU_DEP_4) | instskip(NEXT) | instid1(VALU_DEP_3)
	v_add_f64 v[64:65], v[64:65], -v[206:207]
	v_add_f64 v[56:57], v[58:59], v[44:45]
	s_waitcnt vmcnt(1)
	v_add_f64 v[44:45], v[60:61], v[36:37]
	scratch_load_b64 v[36:37], off, off offset:488 ; 8-byte Folded Reload
	v_add_f64 v[54:55], v[64:65], v[46:47]
	v_add_f64 v[44:45], v[44:45], v[76:77]
	s_delay_alu instid0(VALU_DEP_1)
	v_add_f64 v[44:45], v[44:45], v[80:81]
	s_waitcnt vmcnt(0)
	v_add_f64 v[46:47], v[62:63], v[36:37]
	scratch_load_b64 v[36:37], off, off offset:512 ; 8-byte Folded Reload
	s_waitcnt vmcnt(0)
	v_add_f64 v[46:47], v[46:47], v[36:37]
	scratch_load_b64 v[36:37], off, off offset:544 ; 8-byte Folded Reload
	v_add_f64 v[46:47], v[46:47], v[74:75]
	s_delay_alu instid0(VALU_DEP_1)
	v_add_f64 v[46:47], v[46:47], v[78:79]
	s_waitcnt vmcnt(0)
	v_add_f64 v[44:45], v[44:45], v[36:37]
	scratch_load_b64 v[36:37], off, off offset:560 ; 8-byte Folded Reload
	s_waitcnt vmcnt(0)
	v_add_f64 v[44:45], v[44:45], v[36:37]
	scratch_load_b64 v[36:37], off, off offset:528 ; 8-byte Folded Reload
	s_waitcnt vmcnt(0)
	v_add_f64 v[46:47], v[46:47], v[36:37]
	v_add_f64 v[36:37], v[44:45], v[96:97]
	s_delay_alu instid0(VALU_DEP_2) | instskip(NEXT) | instid1(VALU_DEP_2)
	v_add_f64 v[44:45], v[46:47], v[98:99]
	v_add_f64 v[36:37], v[36:37], v[38:39]
	scratch_load_b64 v[38:39], off, off offset:576 ; 8-byte Folded Reload
	v_add_f64 v[36:37], v[36:37], v[40:41]
	scratch_load_b64 v[40:41], off, off offset:640 ; 8-byte Folded Reload
	;; [unrolled: 2-line block ×3, first 2 shown]
	v_add_f64 v[36:37], v[36:37], v[50:51]
	s_waitcnt vmcnt(2)
	v_add_f64 v[38:39], v[44:45], v[38:39]
	scratch_load_b64 v[44:45], off, off offset:608 ; 8-byte Folded Reload
	s_waitcnt vmcnt(0)
	v_add_f64 v[38:39], v[38:39], v[44:45]
	s_delay_alu instid0(VALU_DEP_1) | instskip(NEXT) | instid1(VALU_DEP_1)
	v_add_f64 v[38:39], v[38:39], v[42:43]
	v_add_f64 v[40:41], v[38:39], v[40:41]
	v_add_f64 v[38:39], v[36:37], v[52:53]
	scratch_load_b64 v[36:37], off, off offset:704 ; 8-byte Folded Reload
	s_waitcnt vmcnt(0)
	v_add_f64 v[36:37], v[40:41], v[36:37]
	s_clause 0x1
	scratch_load_b32 v40, off, off offset:436
	scratch_load_b32 v41, off, off offset:4
	s_waitcnt vmcnt(1)
	v_mul_u32_u24_e32 v40, 52, v40
	s_waitcnt vmcnt(0)
	s_delay_alu instid0(VALU_DEP_1)
	v_or_b32_e32 v40, v40, v41
	scratch_load_b128 v[41:44], off, off offset:24 ; 16-byte Folded Reload
	v_lshlrev_b32_e32 v40, 4, v40
	s_waitcnt vmcnt(0)
	ds_store_b128 v40, v[41:44] offset:704
	ds_store_b128 v40, v[12:15] offset:128
	;; [unrolled: 1-line block ×11, first 2 shown]
	ds_store_b128 v40, v[36:39]
	scratch_load_b128 v[0:3], off, off offset:8 ; 16-byte Folded Reload
	s_waitcnt vmcnt(0)
	ds_store_b128 v40, v[0:3] offset:768
.LBB0_5:
	s_or_b32 exec_lo, exec_lo, s33
	scratch_load_b32 v0, off, off           ; 4-byte Folded Reload
	s_waitcnt vmcnt(0) lgkmcnt(0)
	s_waitcnt_vscnt null, 0x0
	s_barrier
	buffer_gl0_inv
	ds_load_b128 v[68:71], v240 offset:3328
	ds_load_b128 v[72:75], v240 offset:4160
	;; [unrolled: 1-line block ×8, first 2 shown]
	s_mov_b32 s13, 0xbfebb67a
	s_add_u32 s8, s8, 0x4e00
	s_addc_u32 s9, s9, 0
	ds_load_b128 v[4:7], v240 offset:10816
	s_clause 0x3
	scratch_load_b32 v163, off, off offset:688
	scratch_load_b32 v165, off, off offset:744
	;; [unrolled: 1-line block ×4, first 2 shown]
	ds_load_b128 v[64:67], v240 offset:2496
	v_lshlrev_b32_e32 v148, 4, v0
	ds_load_b128 v[0:3], v240 offset:9984
	global_load_b128 v[144:147], v148, s[10:11] offset:800
	s_waitcnt vmcnt(0) lgkmcnt(0)
	v_mul_f64 v[10:11], v[0:1], v[146:147]
	v_mul_f64 v[8:9], v[2:3], v[146:147]
	;; [unrolled: 1-line block ×3, first 2 shown]
	s_delay_alu instid0(VALU_DEP_3) | instskip(SKIP_4) | instid1(VALU_DEP_2)
	v_fma_f64 v[58:59], v[2:3], v[144:145], v[10:11]
	scratch_load_b32 v3, off, off offset:444 ; 4-byte Folded Reload
	v_fma_f64 v[56:57], v[0:1], v[144:145], -v[8:9]
	v_mul_f64 v[0:1], v[4:5], v[146:147]
	v_fma_f64 v[8:9], v[4:5], v[144:145], -v[12:13]
	v_fma_f64 v[10:11], v[6:7], v[144:145], v[0:1]
	s_waitcnt vmcnt(0)
	v_and_b32_e32 v2, 0xff, v3
	s_delay_alu instid0(VALU_DEP_1) | instskip(NEXT) | instid1(VALU_DEP_1)
	v_mul_lo_u16 v2, 0x4f, v2
	v_lshrrev_b16 v2, 12, v2
	s_delay_alu instid0(VALU_DEP_1) | instskip(NEXT) | instid1(VALU_DEP_1)
	v_mul_lo_u16 v2, v2, 52
	v_sub_nc_u16 v2, v3, v2
	s_delay_alu instid0(VALU_DEP_1) | instskip(NEXT) | instid1(VALU_DEP_1)
	v_and_b32_e32 v2, 0xff, v2
	v_lshlrev_b32_e32 v160, 4, v2
	ds_load_b128 v[0:3], v240 offset:11648
	global_load_b128 v[14:17], v160, s[10:11] offset:800
	s_waitcnt vmcnt(0) lgkmcnt(0)
	v_mul_f64 v[4:5], v[2:3], v[16:17]
	scratch_store_b128 off, v[14:17], off offset:496 ; 16-byte Folded Spill
	v_fma_f64 v[12:13], v[0:1], v[14:15], -v[4:5]
	v_mul_f64 v[0:1], v[0:1], v[16:17]
	s_delay_alu instid0(VALU_DEP_1) | instskip(SKIP_3) | instid1(VALU_DEP_1)
	v_fma_f64 v[14:15], v[2:3], v[14:15], v[0:1]
	scratch_load_b32 v1, off, off offset:440 ; 4-byte Folded Reload
	s_waitcnt vmcnt(0)
	v_and_b32_e32 v0, 0xff, v1
	v_mul_lo_u16 v0, 0x4f, v0
	s_delay_alu instid0(VALU_DEP_1) | instskip(NEXT) | instid1(VALU_DEP_1)
	v_lshrrev_b16 v0, 12, v0
	v_mul_lo_u16 v0, v0, 52
	s_delay_alu instid0(VALU_DEP_1) | instskip(NEXT) | instid1(VALU_DEP_1)
	v_sub_nc_u16 v0, v1, v0
	v_and_b32_e32 v0, 0xff, v0
	s_delay_alu instid0(VALU_DEP_1)
	v_lshlrev_b32_e32 v162, 4, v0
	ds_load_b128 v[0:3], v240 offset:12480
	global_load_b128 v[18:21], v162, s[10:11] offset:800
	s_waitcnt vmcnt(0) lgkmcnt(0)
	v_mul_f64 v[4:5], v[2:3], v[20:21]
	scratch_store_b128 off, v[18:21], off offset:512 ; 16-byte Folded Spill
	v_fma_f64 v[16:17], v[0:1], v[18:19], -v[4:5]
	v_mul_f64 v[0:1], v[0:1], v[20:21]
	s_delay_alu instid0(VALU_DEP_2) | instskip(NEXT) | instid1(VALU_DEP_2)
	v_add_f64 v[16:17], v[64:65], -v[16:17]
	v_fma_f64 v[18:19], v[2:3], v[18:19], v[0:1]
	v_and_b32_e32 v0, 0xffff, v164
	s_delay_alu instid0(VALU_DEP_1) | instskip(NEXT) | instid1(VALU_DEP_1)
	v_mul_u32_u24_e32 v55, 0x4ec5, v0
	v_lshrrev_b32_e32 v0, 20, v55
	s_delay_alu instid0(VALU_DEP_1) | instskip(NEXT) | instid1(VALU_DEP_1)
	v_mul_lo_u16 v0, v0, 52
	v_sub_nc_u16 v0, v164, v0
	s_delay_alu instid0(VALU_DEP_1) | instskip(NEXT) | instid1(VALU_DEP_1)
	v_and_b32_e32 v0, 0xffff, v0
	v_lshlrev_b32_e32 v161, 4, v0
	ds_load_b128 v[0:3], v240 offset:13312
	global_load_b128 v[22:25], v161, s[10:11] offset:800
	v_fma_f64 v[64:65], v[64:65], 2.0, -v[16:17]
	v_add_f64 v[18:19], v[66:67], -v[18:19]
	s_delay_alu instid0(VALU_DEP_1)
	v_fma_f64 v[66:67], v[66:67], 2.0, -v[18:19]
	s_waitcnt vmcnt(0) lgkmcnt(0)
	v_mul_f64 v[4:5], v[2:3], v[24:25]
	scratch_store_b128 off, v[22:25], off offset:528 ; 16-byte Folded Spill
	v_fma_f64 v[20:21], v[0:1], v[22:23], -v[4:5]
	v_mul_f64 v[0:1], v[0:1], v[24:25]
	s_delay_alu instid0(VALU_DEP_2) | instskip(NEXT) | instid1(VALU_DEP_2)
	v_add_f64 v[20:21], v[68:69], -v[20:21]
	v_fma_f64 v[22:23], v[2:3], v[22:23], v[0:1]
	v_and_b32_e32 v0, 0xffff, v163
	s_delay_alu instid0(VALU_DEP_1) | instskip(NEXT) | instid1(VALU_DEP_1)
	v_mul_u32_u24_e32 v54, 0x4ec5, v0
	v_lshrrev_b32_e32 v0, 20, v54
	s_delay_alu instid0(VALU_DEP_1) | instskip(NEXT) | instid1(VALU_DEP_1)
	v_mul_lo_u16 v0, v0, 52
	v_sub_nc_u16 v0, v163, v0
	s_delay_alu instid0(VALU_DEP_1) | instskip(NEXT) | instid1(VALU_DEP_1)
	v_and_b32_e32 v0, 0xffff, v0
	v_lshlrev_b32_e32 v159, 4, v0
	ds_load_b128 v[0:3], v240 offset:14144
	global_load_b128 v[26:29], v159, s[10:11] offset:800
	v_fma_f64 v[68:69], v[68:69], 2.0, -v[20:21]
	v_add_f64 v[22:23], v[70:71], -v[22:23]
	s_delay_alu instid0(VALU_DEP_1)
	v_fma_f64 v[70:71], v[70:71], 2.0, -v[22:23]
	;; [unrolled: 24-line block ×4, first 2 shown]
	s_waitcnt vmcnt(0) lgkmcnt(0)
	v_mul_f64 v[4:5], v[2:3], v[36:37]
	scratch_store_b128 off, v[34:37], off offset:576 ; 16-byte Folded Spill
	v_fma_f64 v[32:33], v[0:1], v[34:35], -v[4:5]
	v_mul_f64 v[0:1], v[0:1], v[36:37]
	s_delay_alu instid0(VALU_DEP_2) | instskip(NEXT) | instid1(VALU_DEP_2)
	v_add_f64 v[32:33], v[80:81], -v[32:33]
	v_fma_f64 v[34:35], v[2:3], v[34:35], v[0:1]
	scratch_load_b32 v1, off, off offset:460 ; 4-byte Folded Reload
	v_fma_f64 v[80:81], v[80:81], 2.0, -v[32:33]
	v_add_f64 v[34:35], v[82:83], -v[34:35]
	s_delay_alu instid0(VALU_DEP_1) | instskip(SKIP_2) | instid1(VALU_DEP_1)
	v_fma_f64 v[82:83], v[82:83], 2.0, -v[34:35]
	s_waitcnt vmcnt(0)
	v_and_b32_e32 v0, 0xffff, v1
	v_mul_u32_u24_e32 v0, 0x4ec5, v0
	s_delay_alu instid0(VALU_DEP_1) | instskip(NEXT) | instid1(VALU_DEP_1)
	v_lshrrev_b32_e32 v0, 20, v0
	v_mul_lo_u16 v0, v0, 52
	s_delay_alu instid0(VALU_DEP_1) | instskip(NEXT) | instid1(VALU_DEP_1)
	v_sub_nc_u16 v0, v1, v0
	v_and_b32_e32 v0, 0xffff, v0
	s_delay_alu instid0(VALU_DEP_1)
	v_lshlrev_b32_e32 v156, 4, v0
	ds_load_b128 v[0:3], v240 offset:16640
	global_load_b128 v[38:41], v156, s[10:11] offset:800
	s_waitcnt vmcnt(0) lgkmcnt(0)
	v_mul_f64 v[4:5], v[2:3], v[40:41]
	scratch_store_b128 off, v[38:41], off offset:592 ; 16-byte Folded Spill
	v_fma_f64 v[36:37], v[0:1], v[38:39], -v[4:5]
	v_mul_f64 v[0:1], v[0:1], v[40:41]
	s_delay_alu instid0(VALU_DEP_2) | instskip(NEXT) | instid1(VALU_DEP_2)
	v_add_f64 v[36:37], v[84:85], -v[36:37]
	v_fma_f64 v[38:39], v[2:3], v[38:39], v[0:1]
	scratch_load_b32 v1, off, off offset:456 ; 4-byte Folded Reload
	v_fma_f64 v[84:85], v[84:85], 2.0, -v[36:37]
	v_add_f64 v[38:39], v[86:87], -v[38:39]
	s_delay_alu instid0(VALU_DEP_1) | instskip(SKIP_2) | instid1(VALU_DEP_1)
	v_fma_f64 v[86:87], v[86:87], 2.0, -v[38:39]
	s_waitcnt vmcnt(0)
	v_and_b32_e32 v0, 0xffff, v1
	v_mul_u32_u24_e32 v0, 0x4ec5, v0
	s_delay_alu instid0(VALU_DEP_1) | instskip(NEXT) | instid1(VALU_DEP_1)
	v_lshrrev_b32_e32 v0, 20, v0
	v_mul_lo_u16 v0, v0, 52
	s_delay_alu instid0(VALU_DEP_1) | instskip(NEXT) | instid1(VALU_DEP_1)
	v_sub_nc_u16 v0, v1, v0
	v_and_b32_e32 v0, 0xffff, v0
	s_delay_alu instid0(VALU_DEP_1)
	v_lshlrev_b32_e32 v155, 4, v0
	ds_load_b128 v[0:3], v240 offset:17472
	global_load_b128 v[42:45], v155, s[10:11] offset:800
	s_waitcnt vmcnt(0) lgkmcnt(0)
	v_mul_f64 v[4:5], v[2:3], v[44:45]
	scratch_store_b128 off, v[42:45], off offset:608 ; 16-byte Folded Spill
	v_fma_f64 v[40:41], v[0:1], v[42:43], -v[4:5]
	v_mul_f64 v[0:1], v[0:1], v[44:45]
	s_delay_alu instid0(VALU_DEP_2) | instskip(NEXT) | instid1(VALU_DEP_2)
	v_add_f64 v[40:41], v[88:89], -v[40:41]
	v_fma_f64 v[42:43], v[2:3], v[42:43], v[0:1]
	scratch_load_b32 v1, off, off offset:452 ; 4-byte Folded Reload
	v_fma_f64 v[88:89], v[88:89], 2.0, -v[40:41]
	v_add_f64 v[42:43], v[90:91], -v[42:43]
	s_delay_alu instid0(VALU_DEP_1) | instskip(SKIP_2) | instid1(VALU_DEP_1)
	v_fma_f64 v[90:91], v[90:91], 2.0, -v[42:43]
	s_waitcnt vmcnt(0)
	v_and_b32_e32 v0, 0xffff, v1
	v_mul_u32_u24_e32 v0, 0x4ec5, v0
	s_delay_alu instid0(VALU_DEP_1) | instskip(NEXT) | instid1(VALU_DEP_1)
	v_lshrrev_b32_e32 v0, 20, v0
	v_mul_lo_u16 v0, v0, 52
	s_delay_alu instid0(VALU_DEP_1) | instskip(NEXT) | instid1(VALU_DEP_1)
	v_sub_nc_u16 v0, v1, v0
	v_and_b32_e32 v0, 0xffff, v0
	s_delay_alu instid0(VALU_DEP_1)
	v_lshlrev_b32_e32 v154, 4, v0
	ds_load_b128 v[0:3], v240 offset:18304
	global_load_b128 v[46:49], v154, s[10:11] offset:800
	s_waitcnt vmcnt(0) lgkmcnt(0)
	v_mul_f64 v[4:5], v[2:3], v[48:49]
	scratch_store_b128 off, v[46:49], off offset:624 ; 16-byte Folded Spill
	v_fma_f64 v[44:45], v[0:1], v[46:47], -v[4:5]
	v_mul_f64 v[0:1], v[0:1], v[48:49]
	s_delay_alu instid0(VALU_DEP_2) | instskip(NEXT) | instid1(VALU_DEP_2)
	v_add_f64 v[44:45], v[92:93], -v[44:45]
	v_fma_f64 v[46:47], v[2:3], v[46:47], v[0:1]
	scratch_load_b32 v1, off, off offset:448 ; 4-byte Folded Reload
	v_fma_f64 v[92:93], v[92:93], 2.0, -v[44:45]
	v_add_f64 v[46:47], v[94:95], -v[46:47]
	s_delay_alu instid0(VALU_DEP_1) | instskip(SKIP_2) | instid1(VALU_DEP_1)
	v_fma_f64 v[94:95], v[94:95], 2.0, -v[46:47]
	s_waitcnt vmcnt(0)
	v_and_b32_e32 v0, 0xffff, v1
	v_mul_u32_u24_e32 v0, 0x4ec5, v0
	s_delay_alu instid0(VALU_DEP_1) | instskip(NEXT) | instid1(VALU_DEP_1)
	v_lshrrev_b32_e32 v0, 20, v0
	v_mul_lo_u16 v0, v0, 52
	s_delay_alu instid0(VALU_DEP_1) | instskip(NEXT) | instid1(VALU_DEP_1)
	v_sub_nc_u16 v0, v1, v0
	v_and_b32_e32 v0, 0xffff, v0
	s_delay_alu instid0(VALU_DEP_1)
	v_lshlrev_b32_e32 v153, 4, v0
	ds_load_b128 v[0:3], v240 offset:19136
	global_load_b128 v[60:63], v153, s[10:11] offset:800
	s_waitcnt vmcnt(0) lgkmcnt(0)
	v_mul_f64 v[4:5], v[2:3], v[62:63]
	scratch_store_b128 off, v[60:63], off offset:640 ; 16-byte Folded Spill
	v_fma_f64 v[48:49], v[0:1], v[60:61], -v[4:5]
	v_mul_f64 v[0:1], v[0:1], v[62:63]
	ds_load_b128 v[4:7], v240
	v_add_f64 v[48:49], v[149:150], -v[48:49]
	v_fma_f64 v[50:51], v[2:3], v[60:61], v[0:1]
	ds_load_b128 v[60:63], v240 offset:1664
	s_waitcnt lgkmcnt(1)
	v_add_f64 v[0:1], v[4:5], -v[56:57]
	v_add_f64 v[2:3], v[6:7], -v[58:59]
	ds_load_b128 v[56:59], v240 offset:832
	s_waitcnt lgkmcnt(0)
	s_waitcnt_vscnt null, 0x0
	s_barrier
	buffer_gl0_inv
	v_add_f64 v[12:13], v[60:61], -v[12:13]
	v_add_f64 v[14:15], v[62:63], -v[14:15]
	;; [unrolled: 1-line block ×4, first 2 shown]
	v_fma_f64 v[149:150], v[149:150], 2.0, -v[48:49]
	v_add_f64 v[50:51], v[151:152], -v[50:51]
	v_fma_f64 v[4:5], v[4:5], 2.0, -v[0:1]
	v_fma_f64 v[6:7], v[6:7], 2.0, -v[2:3]
	;; [unrolled: 1-line block ×6, first 2 shown]
	ds_store_b128 v240, v[0:3] offset:832
	ds_store_b128 v240, v[8:11] offset:2496
	ds_store_b128 v240, v[4:7]
	ds_store_b128 v240, v[56:59] offset:1664
	ds_store_b128 v160, v[12:15] offset:4160
	;; [unrolled: 1-line block ×11, first 2 shown]
	scratch_load_b32 v0, off, off offset:672 ; 4-byte Folded Reload
	v_fma_f64 v[151:152], v[151:152], 2.0, -v[50:51]
	s_clause 0x7
	scratch_store_b32 off, v160, off offset:472
	scratch_store_b32 off, v159, off offset:464
	;; [unrolled: 1-line block ×8, first 2 shown]
	ds_store_b128 v160, v[60:63] offset:3328
	ds_store_b128 v159, v[72:75] offset:8320
	s_clause 0x1
	scratch_store_b32 off, v162, off offset:488
	scratch_store_b32 off, v161, off offset:480
	ds_store_b128 v162, v[64:67] offset:4992
	ds_store_b128 v161, v[68:71] offset:6656
	;; [unrolled: 1-line block ×8, first 2 shown]
	s_waitcnt vmcnt(0) lgkmcnt(0)
	s_waitcnt_vscnt null, 0x0
	s_barrier
	buffer_gl0_inv
	scratch_load_b32 v241, off, off offset:1024 ; 4-byte Folded Reload
	v_lshlrev_b32_e32 v6, 4, v0
	ds_load_b128 v[0:3], v240 offset:6656
	s_clause 0x1
	global_load_b128 v[192:195], v6, s[10:11] offset:1632
	global_load_b128 v[208:211], v6, s[10:11] offset:1648
	s_waitcnt vmcnt(2)
	s_clause 0x1
	global_load_b128 v[204:207], v241, s[10:11] offset:1632
	global_load_b128 v[200:203], v241, s[10:11] offset:1648
	s_waitcnt vmcnt(3) lgkmcnt(0)
	v_mul_f64 v[4:5], v[2:3], v[194:195]
	s_delay_alu instid0(VALU_DEP_1) | instskip(SKIP_1) | instid1(VALU_DEP_1)
	v_fma_f64 v[12:13], v[0:1], v[192:193], -v[4:5]
	v_mul_f64 v[0:1], v[0:1], v[194:195]
	v_fma_f64 v[14:15], v[2:3], v[192:193], v[0:1]
	ds_load_b128 v[0:3], v240 offset:13312
	s_waitcnt vmcnt(2) lgkmcnt(0)
	v_mul_f64 v[4:5], v[2:3], v[210:211]
	s_delay_alu instid0(VALU_DEP_1) | instskip(SKIP_1) | instid1(VALU_DEP_1)
	v_fma_f64 v[16:17], v[0:1], v[208:209], -v[4:5]
	v_mul_f64 v[0:1], v[0:1], v[210:211]
	v_fma_f64 v[18:19], v[2:3], v[208:209], v[0:1]
	ds_load_b128 v[0:3], v240 offset:7488
	s_waitcnt vmcnt(1) lgkmcnt(0)
	v_mul_f64 v[4:5], v[2:3], v[206:207]
	s_delay_alu instid0(VALU_DEP_1) | instskip(SKIP_1) | instid1(VALU_DEP_1)
	v_fma_f64 v[24:25], v[0:1], v[204:205], -v[4:5]
	v_mul_f64 v[0:1], v[0:1], v[206:207]
	v_fma_f64 v[26:27], v[2:3], v[204:205], v[0:1]
	ds_load_b128 v[0:3], v240 offset:14144
	s_waitcnt vmcnt(0) lgkmcnt(0)
	v_mul_f64 v[4:5], v[2:3], v[202:203]
	s_delay_alu instid0(VALU_DEP_1) | instskip(SKIP_1) | instid1(VALU_DEP_1)
	v_fma_f64 v[28:29], v[0:1], v[200:201], -v[4:5]
	v_mul_f64 v[0:1], v[0:1], v[202:203]
	v_fma_f64 v[30:31], v[2:3], v[200:201], v[0:1]
	ds_load_b128 v[0:3], v240 offset:8320
	s_waitcnt lgkmcnt(0)
	v_mul_f64 v[4:5], v[2:3], v[194:195]
	s_delay_alu instid0(VALU_DEP_1) | instskip(SKIP_1) | instid1(VALU_DEP_1)
	v_fma_f64 v[36:37], v[0:1], v[192:193], -v[4:5]
	v_mul_f64 v[0:1], v[0:1], v[194:195]
	v_fma_f64 v[38:39], v[2:3], v[192:193], v[0:1]
	ds_load_b128 v[0:3], v240 offset:14976
	s_waitcnt lgkmcnt(0)
	v_mul_f64 v[4:5], v[2:3], v[210:211]
	s_delay_alu instid0(VALU_DEP_1) | instskip(SKIP_1) | instid1(VALU_DEP_2)
	v_fma_f64 v[40:41], v[0:1], v[208:209], -v[4:5]
	v_mul_f64 v[0:1], v[0:1], v[210:211]
	v_add_f64 v[44:45], v[36:37], v[40:41]
	s_delay_alu instid0(VALU_DEP_2) | instskip(SKIP_4) | instid1(VALU_DEP_2)
	v_fma_f64 v[42:43], v[2:3], v[208:209], v[0:1]
	ds_load_b128 v[0:3], v240 offset:9152
	s_waitcnt lgkmcnt(0)
	v_mul_f64 v[4:5], v[2:3], v[206:207]
	v_add_f64 v[46:47], v[38:39], v[42:43]
	v_fma_f64 v[48:49], v[0:1], v[204:205], -v[4:5]
	v_mul_f64 v[0:1], v[0:1], v[206:207]
	s_delay_alu instid0(VALU_DEP_1) | instskip(SKIP_3) | instid1(VALU_DEP_1)
	v_fma_f64 v[50:51], v[2:3], v[204:205], v[0:1]
	ds_load_b128 v[0:3], v240 offset:15808
	s_waitcnt lgkmcnt(0)
	v_mul_f64 v[4:5], v[2:3], v[202:203]
	v_fma_f64 v[56:57], v[0:1], v[200:201], -v[4:5]
	v_mul_f64 v[0:1], v[0:1], v[202:203]
	s_delay_alu instid0(VALU_DEP_1) | instskip(SKIP_1) | instid1(VALU_DEP_1)
	v_fma_f64 v[58:59], v[2:3], v[200:201], v[0:1]
	v_lshrrev_b32_e32 v0, 21, v55
	v_mul_lo_u16 v0, 0x68, v0
	s_delay_alu instid0(VALU_DEP_1) | instskip(NEXT) | instid1(VALU_DEP_1)
	v_sub_nc_u16 v8, v164, v0
	v_lshlrev_b16 v0, 5, v8
	s_delay_alu instid0(VALU_DEP_1) | instskip(NEXT) | instid1(VALU_DEP_1)
	v_and_b32_e32 v0, 0xffff, v0
	v_add_co_u32 v4, s0, s10, v0
	s_delay_alu instid0(VALU_DEP_1)
	v_add_co_ci_u32_e64 v5, null, s11, 0, s0
	ds_load_b128 v[0:3], v240 offset:9984
	global_load_b128 v[20:23], v[4:5], off offset:1632
	s_waitcnt vmcnt(0) lgkmcnt(0)
	v_mul_f64 v[6:7], v[2:3], v[22:23]
	scratch_store_b128 off, v[20:23], off offset:672 ; 16-byte Folded Spill
	v_fma_f64 v[60:61], v[0:1], v[20:21], -v[6:7]
	v_mul_f64 v[0:1], v[0:1], v[22:23]
	s_delay_alu instid0(VALU_DEP_1)
	v_fma_f64 v[62:63], v[2:3], v[20:21], v[0:1]
	global_load_b128 v[20:23], v[4:5], off offset:1648
	ds_load_b128 v[0:3], v240 offset:16640
	s_waitcnt vmcnt(0) lgkmcnt(0)
	v_mul_f64 v[4:5], v[2:3], v[22:23]
	scratch_store_b128 off, v[20:23], off offset:656 ; 16-byte Folded Spill
	v_fma_f64 v[64:65], v[0:1], v[20:21], -v[4:5]
	v_mul_f64 v[0:1], v[0:1], v[22:23]
	s_delay_alu instid0(VALU_DEP_2) | instskip(NEXT) | instid1(VALU_DEP_2)
	v_add_f64 v[68:69], v[60:61], v[64:65]
	v_fma_f64 v[66:67], v[2:3], v[20:21], v[0:1]
	v_lshrrev_b32_e32 v0, 21, v54
	v_add_f64 v[54:55], v[50:51], v[58:59]
	s_delay_alu instid0(VALU_DEP_2) | instskip(NEXT) | instid1(VALU_DEP_1)
	v_mul_lo_u16 v0, 0x68, v0
	v_sub_nc_u16 v9, v163, v0
	s_delay_alu instid0(VALU_DEP_1) | instskip(NEXT) | instid1(VALU_DEP_1)
	v_lshlrev_b16 v0, 5, v9
	v_and_b32_e32 v0, 0xffff, v0
	s_delay_alu instid0(VALU_DEP_1) | instskip(NEXT) | instid1(VALU_DEP_1)
	v_add_co_u32 v4, s0, s10, v0
	v_add_co_ci_u32_e64 v5, null, s11, 0, s0
	ds_load_b128 v[0:3], v240 offset:10816
	global_load_b128 v[20:23], v[4:5], off offset:1632
	v_add_f64 v[70:71], v[62:63], v[66:67]
	s_waitcnt vmcnt(0) lgkmcnt(0)
	v_mul_f64 v[6:7], v[2:3], v[22:23]
	scratch_store_b128 off, v[20:23], off offset:704 ; 16-byte Folded Spill
	v_fma_f64 v[72:73], v[0:1], v[20:21], -v[6:7]
	v_mul_f64 v[0:1], v[0:1], v[22:23]
	s_delay_alu instid0(VALU_DEP_1)
	v_fma_f64 v[74:75], v[2:3], v[20:21], v[0:1]
	global_load_b128 v[20:23], v[4:5], off offset:1648
	ds_load_b128 v[0:3], v240 offset:17472
	s_waitcnt vmcnt(0) lgkmcnt(0)
	v_mul_f64 v[4:5], v[2:3], v[22:23]
	scratch_store_b128 off, v[20:23], off offset:688 ; 16-byte Folded Spill
	v_fma_f64 v[76:77], v[0:1], v[20:21], -v[4:5]
	v_mul_f64 v[0:1], v[0:1], v[22:23]
	s_delay_alu instid0(VALU_DEP_2) | instskip(NEXT) | instid1(VALU_DEP_2)
	v_add_f64 v[80:81], v[72:73], v[76:77]
	v_fma_f64 v[78:79], v[2:3], v[20:21], v[0:1]
	v_lshrrev_b32_e32 v0, 21, v53
	s_delay_alu instid0(VALU_DEP_1) | instskip(NEXT) | instid1(VALU_DEP_1)
	v_mul_lo_u16 v0, 0x68, v0
	v_sub_nc_u16 v10, v166, v0
	s_delay_alu instid0(VALU_DEP_1) | instskip(NEXT) | instid1(VALU_DEP_1)
	v_lshlrev_b16 v0, 5, v10
	v_and_b32_e32 v0, 0xffff, v0
	s_delay_alu instid0(VALU_DEP_1) | instskip(NEXT) | instid1(VALU_DEP_1)
	v_add_co_u32 v4, s0, s10, v0
	v_add_co_ci_u32_e64 v5, null, s11, 0, s0
	ds_load_b128 v[0:3], v240 offset:11648
	global_load_b128 v[20:23], v[4:5], off offset:1632
	v_add_f64 v[82:83], v[74:75], v[78:79]
	s_waitcnt vmcnt(0) lgkmcnt(0)
	v_mul_f64 v[6:7], v[2:3], v[22:23]
	scratch_store_b128 off, v[20:23], off offset:720 ; 16-byte Folded Spill
	v_fma_f64 v[84:85], v[0:1], v[20:21], -v[6:7]
	v_mul_f64 v[0:1], v[0:1], v[22:23]
	s_delay_alu instid0(VALU_DEP_1) | instskip(SKIP_4) | instid1(VALU_DEP_1)
	v_fma_f64 v[86:87], v[2:3], v[20:21], v[0:1]
	global_load_b128 v[20:23], v[4:5], off offset:1648
	ds_load_b128 v[0:3], v240 offset:18304
	s_waitcnt vmcnt(0) lgkmcnt(0)
	v_mul_f64 v[4:5], v[2:3], v[22:23]
	v_fma_f64 v[88:89], v[0:1], v[20:21], -v[4:5]
	v_mul_f64 v[0:1], v[0:1], v[22:23]
	ds_load_b128 v[4:7], v240 offset:12480
	v_add_f64 v[90:91], v[84:85], v[88:89]
	v_fma_f64 v[0:1], v[2:3], v[20:21], v[0:1]
	v_lshrrev_b32_e32 v2, 21, v52
	v_add_f64 v[52:53], v[48:49], v[56:57]
	s_delay_alu instid0(VALU_DEP_2) | instskip(NEXT) | instid1(VALU_DEP_1)
	v_mul_lo_u16 v2, 0x68, v2
	v_sub_nc_u16 v11, v165, v2
	s_delay_alu instid0(VALU_DEP_1) | instskip(NEXT) | instid1(VALU_DEP_1)
	v_lshlrev_b16 v2, 5, v11
	v_and_b32_e32 v2, 0xffff, v2
	s_delay_alu instid0(VALU_DEP_1) | instskip(NEXT) | instid1(VALU_DEP_1)
	v_add_co_u32 v2, s0, s10, v2
	v_add_co_ci_u32_e64 v3, null, s11, 0, s0
	s_mov_b32 s0, 0xe8584caa
	s_mov_b32 s1, 0x3febb67a
	;; [unrolled: 1-line block ×3, first 2 shown]
	global_load_b128 v[32:35], v[2:3], off offset:1632
	scratch_store_b128 off, v[20:23], off offset:764 ; 16-byte Folded Spill
	v_add_f64 v[92:93], v[86:87], v[0:1]
	s_waitcnt vmcnt(0)
	scratch_store_b128 off, v[32:35], off offset:800 ; 16-byte Folded Spill
	s_waitcnt lgkmcnt(0)
	v_mul_f64 v[20:21], v[6:7], v[34:35]
	s_delay_alu instid0(VALU_DEP_1) | instskip(SKIP_3) | instid1(VALU_DEP_2)
	v_fma_f64 v[149:150], v[4:5], v[32:33], -v[20:21]
	global_load_b128 v[20:23], v[2:3], off offset:1648
	v_mul_f64 v[4:5], v[4:5], v[34:35]
	v_add_f64 v[34:35], v[26:27], v[30:31]
	v_fma_f64 v[151:152], v[6:7], v[32:33], v[4:5]
	ds_load_b128 v[4:7], v240 offset:19136
	v_add_f64 v[32:33], v[24:25], v[28:29]
	s_waitcnt vmcnt(0) lgkmcnt(0)
	v_mul_f64 v[2:3], v[6:7], v[22:23]
	scratch_store_b128 off, v[20:23], off offset:780 ; 16-byte Folded Spill
	v_fma_f64 v[2:3], v[4:5], v[20:21], -v[2:3]
	v_mul_f64 v[4:5], v[4:5], v[22:23]
	v_add_f64 v[22:23], v[14:15], v[18:19]
	s_delay_alu instid0(VALU_DEP_2)
	v_fma_f64 v[153:154], v[6:7], v[20:21], v[4:5]
	ds_load_b128 v[4:7], v240
	v_add_f64 v[20:21], v[12:13], v[16:17]
	s_waitcnt lgkmcnt(0)
	v_fma_f64 v[22:23], v[22:23], -0.5, v[6:7]
	v_add_f64 v[6:7], v[6:7], v[14:15]
	v_add_f64 v[14:15], v[14:15], -v[18:19]
	v_add_f64 v[155:156], v[151:152], v[153:154]
	v_fma_f64 v[20:21], v[20:21], -0.5, v[4:5]
	v_add_f64 v[4:5], v[4:5], v[12:13]
	v_add_f64 v[6:7], v[6:7], v[18:19]
	v_add_f64 v[18:19], v[12:13], -v[16:17]
	s_delay_alu instid0(VALU_DEP_4) | instskip(NEXT) | instid1(VALU_DEP_4)
	v_fma_f64 v[12:13], v[14:15], s[0:1], v[20:21]
	v_add_f64 v[4:5], v[4:5], v[16:17]
	v_fma_f64 v[16:17], v[14:15], s[12:13], v[20:21]
	s_delay_alu instid0(VALU_DEP_4)
	v_fma_f64 v[14:15], v[18:19], s[12:13], v[22:23]
	v_fma_f64 v[18:19], v[18:19], s[0:1], v[22:23]
	ds_load_b128 v[20:23], v240 offset:832
	s_waitcnt lgkmcnt(0)
	v_fma_f64 v[34:35], v[34:35], -0.5, v[22:23]
	v_add_f64 v[22:23], v[22:23], v[26:27]
	v_fma_f64 v[32:33], v[32:33], -0.5, v[20:21]
	v_add_f64 v[20:21], v[20:21], v[24:25]
	v_add_f64 v[26:27], v[26:27], -v[30:31]
	s_delay_alu instid0(VALU_DEP_4) | instskip(SKIP_1) | instid1(VALU_DEP_4)
	v_add_f64 v[22:23], v[22:23], v[30:31]
	v_add_f64 v[30:31], v[24:25], -v[28:29]
	v_add_f64 v[20:21], v[20:21], v[28:29]
	s_delay_alu instid0(VALU_DEP_4) | instskip(SKIP_1) | instid1(VALU_DEP_4)
	v_fma_f64 v[24:25], v[26:27], s[0:1], v[32:33]
	v_fma_f64 v[28:29], v[26:27], s[12:13], v[32:33]
	v_fma_f64 v[26:27], v[30:31], s[12:13], v[34:35]
	v_fma_f64 v[30:31], v[30:31], s[0:1], v[34:35]
	ds_load_b128 v[32:35], v240 offset:1664
	s_waitcnt lgkmcnt(0)
	v_fma_f64 v[46:47], v[46:47], -0.5, v[34:35]
	v_add_f64 v[34:35], v[34:35], v[38:39]
	v_fma_f64 v[44:45], v[44:45], -0.5, v[32:33]
	v_add_f64 v[32:33], v[32:33], v[36:37]
	v_add_f64 v[38:39], v[38:39], -v[42:43]
	s_delay_alu instid0(VALU_DEP_4) | instskip(SKIP_1) | instid1(VALU_DEP_4)
	v_add_f64 v[34:35], v[34:35], v[42:43]
	v_add_f64 v[42:43], v[36:37], -v[40:41]
	v_add_f64 v[32:33], v[32:33], v[40:41]
	s_delay_alu instid0(VALU_DEP_4) | instskip(SKIP_1) | instid1(VALU_DEP_4)
	v_fma_f64 v[36:37], v[38:39], s[0:1], v[44:45]
	v_fma_f64 v[40:41], v[38:39], s[12:13], v[44:45]
	;; [unrolled: 16-line block ×6, first 2 shown]
	v_fma_f64 v[86:87], v[0:1], s[12:13], v[92:93]
	v_fma_f64 v[90:91], v[0:1], s[0:1], v[92:93]
	v_add_f64 v[0:1], v[149:150], v[2:3]
	ds_load_b128 v[92:95], v240 offset:5824
	s_waitcnt lgkmcnt(0)
	s_waitcnt_vscnt null, 0x0
	s_barrier
	buffer_gl0_inv
	ds_store_b128 v240, v[4:7]
	ds_store_b128 v240, v[20:23] offset:832
	ds_store_b128 v240, v[32:35] offset:4992
	;; [unrolled: 1-line block ×11, first 2 shown]
	v_fma_f64 v[155:156], v[155:156], -0.5, v[94:95]
	v_add_f64 v[94:95], v[94:95], v[151:152]
	v_add_f64 v[151:152], v[151:152], -v[153:154]
	v_fma_f64 v[0:1], v[0:1], -0.5, v[92:93]
	v_add_f64 v[92:93], v[92:93], v[149:150]
	s_delay_alu instid0(VALU_DEP_4) | instskip(NEXT) | instid1(VALU_DEP_3)
	v_add_f64 v[94:95], v[94:95], v[153:154]
	v_fma_f64 v[153:154], v[151:152], s[12:13], v[0:1]
	s_delay_alu instid0(VALU_DEP_3) | instskip(SKIP_3) | instid1(VALU_DEP_1)
	v_add_f64 v[92:93], v[92:93], v[2:3]
	v_add_f64 v[2:3], v[149:150], -v[2:3]
	v_fma_f64 v[149:150], v[151:152], s[0:1], v[0:1]
	v_and_b32_e32 v0, 0xffff, v8
	v_lshlrev_b32_e32 v0, 4, v0
	ds_store_b128 v0, v[56:59] offset:9984
	ds_store_b128 v0, v[60:63] offset:11648
	scratch_store_b32 off, v0, off offset:1000 ; 4-byte Folded Spill
	ds_store_b128 v0, v[64:67] offset:13312
	v_and_b32_e32 v0, 0xffff, v9
	s_delay_alu instid0(VALU_DEP_1)
	v_lshlrev_b32_e32 v0, 4, v0
	ds_store_b128 v0, v[68:71] offset:9984
	ds_store_b128 v0, v[72:75] offset:11648
	scratch_store_b32 off, v0, off offset:988 ; 4-byte Folded Spill
	ds_store_b128 v0, v[76:79] offset:13312
	v_and_b32_e32 v0, 0xffff, v10
	s_delay_alu instid0(VALU_DEP_1)
	v_lshlrev_b32_e32 v0, 4, v0
	ds_store_b128 v0, v[80:83] offset:14976
	ds_store_b128 v0, v[84:87] offset:16640
	v_fma_f64 v[151:152], v[2:3], s[12:13], v[155:156]
	v_fma_f64 v[155:156], v[2:3], s[0:1], v[155:156]
	scratch_store_b32 off, v0, off offset:976 ; 4-byte Folded Spill
	ds_store_b128 v0, v[88:91] offset:18304
	v_and_b32_e32 v0, 0xffff, v11
	v_add_co_u32 v48, s0, s10, v148
	s_delay_alu instid0(VALU_DEP_1) | instskip(NEXT) | instid1(VALU_DEP_3)
	v_add_co_ci_u32_e64 v49, null, s11, 0, s0
	v_lshlrev_b32_e32 v0, 4, v0
	ds_store_b128 v0, v[92:95] offset:14976
	ds_store_b128 v0, v[149:152] offset:16640
	scratch_store_b32 off, v0, off offset:968 ; 4-byte Folded Spill
	ds_store_b128 v0, v[153:156] offset:18304
	v_add_co_u32 v0, s0, 0x1000, v48
	s_delay_alu instid0(VALU_DEP_1)
	v_add_co_ci_u32_e64 v1, s0, 0, v49, s0
	s_waitcnt lgkmcnt(0)
	s_waitcnt_vscnt null, 0x0
	s_barrier
	buffer_gl0_inv
	s_clause 0x2
	global_load_b128 v[236:239], v[0:1], off offset:864
	global_load_b128 v[16:19], v[0:1], off offset:1696
	;; [unrolled: 1-line block ×3, first 2 shown]
	ds_load_b128 v[4:7], v240 offset:9984
	ds_load_b128 v[20:23], v240 offset:13312
	v_add_co_u32 v24, s0, 0x2000, v48
	s_delay_alu instid0(VALU_DEP_1)
	v_add_co_ci_u32_e64 v25, s0, 0, v49, s0
	ds_load_b128 v[38:41], v240 offset:1664
	ds_load_b128 v[50:53], v240 offset:2496
	;; [unrolled: 1-line block ×4, first 2 shown]
	global_load_b128 v[252:255], v[24:25], off offset:928
	ds_load_b128 v[74:77], v240 offset:4992
	ds_load_b128 v[82:85], v240 offset:5824
	;; [unrolled: 1-line block ×7, first 2 shown]
	s_waitcnt vmcnt(3) lgkmcnt(12)
	v_mul_f64 v[2:3], v[6:7], v[238:239]
	s_delay_alu instid0(VALU_DEP_1) | instskip(SKIP_1) | instid1(VALU_DEP_1)
	v_fma_f64 v[2:3], v[4:5], v[236:237], -v[2:3]
	v_mul_f64 v[4:5], v[4:5], v[238:239]
	v_fma_f64 v[28:29], v[6:7], v[236:237], v[4:5]
	ds_load_b128 v[4:7], v240 offset:10816
	s_waitcnt vmcnt(2) lgkmcnt(0)
	v_mul_f64 v[8:9], v[6:7], v[18:19]
	s_delay_alu instid0(VALU_DEP_1) | instskip(SKIP_1) | instid1(VALU_DEP_2)
	v_fma_f64 v[34:35], v[4:5], v[16:17], -v[8:9]
	v_mul_f64 v[4:5], v[4:5], v[18:19]
	v_add_f64 v[34:35], v[30:31], -v[34:35]
	s_delay_alu instid0(VALU_DEP_2)
	v_fma_f64 v[36:37], v[6:7], v[16:17], v[4:5]
	ds_load_b128 v[4:7], v240 offset:11648
	s_waitcnt vmcnt(1) lgkmcnt(0)
	v_mul_f64 v[8:9], v[6:7], v[14:15]
	v_fma_f64 v[30:31], v[30:31], 2.0, -v[34:35]
	v_add_f64 v[36:37], v[32:33], -v[36:37]
	s_delay_alu instid0(VALU_DEP_3) | instskip(SKIP_4) | instid1(VALU_DEP_3)
	v_fma_f64 v[42:43], v[4:5], v[12:13], -v[8:9]
	global_load_b128 v[8:11], v[0:1], off offset:3360
	v_mul_f64 v[4:5], v[4:5], v[14:15]
	v_fma_f64 v[32:33], v[32:33], 2.0, -v[36:37]
	v_add_f64 v[42:43], v[38:39], -v[42:43]
	v_fma_f64 v[44:45], v[6:7], v[12:13], v[4:5]
	ds_load_b128 v[4:7], v240 offset:12480
	v_fma_f64 v[38:39], v[38:39], 2.0, -v[42:43]
	v_add_f64 v[44:45], v[40:41], -v[44:45]
	s_delay_alu instid0(VALU_DEP_1) | instskip(SKIP_2) | instid1(VALU_DEP_1)
	v_fma_f64 v[40:41], v[40:41], 2.0, -v[44:45]
	s_waitcnt vmcnt(0) lgkmcnt(0)
	v_mul_f64 v[0:1], v[6:7], v[10:11]
	v_fma_f64 v[0:1], v[4:5], v[8:9], -v[0:1]
	v_mul_f64 v[4:5], v[4:5], v[10:11]
	s_delay_alu instid0(VALU_DEP_2) | instskip(NEXT) | instid1(VALU_DEP_2)
	v_add_f64 v[54:55], v[50:51], -v[0:1]
	v_fma_f64 v[46:47], v[6:7], v[8:9], v[4:5]
	global_load_b128 v[4:7], v[24:25], off offset:96
	v_fma_f64 v[50:51], v[50:51], 2.0, -v[54:55]
	v_add_f64 v[56:57], v[52:53], -v[46:47]
	s_delay_alu instid0(VALU_DEP_1) | instskip(SKIP_2) | instid1(VALU_DEP_1)
	v_fma_f64 v[52:53], v[52:53], 2.0, -v[56:57]
	s_waitcnt vmcnt(0)
	v_mul_f64 v[26:27], v[22:23], v[6:7]
	v_fma_f64 v[62:63], v[20:21], v[4:5], -v[26:27]
	v_mul_f64 v[20:21], v[20:21], v[6:7]
	s_delay_alu instid0(VALU_DEP_2) | instskip(NEXT) | instid1(VALU_DEP_2)
	v_add_f64 v[62:63], v[58:59], -v[62:63]
	v_fma_f64 v[64:65], v[22:23], v[4:5], v[20:21]
	ds_load_b128 v[20:23], v240 offset:14144
	s_waitcnt lgkmcnt(0)
	v_mul_f64 v[26:27], v[22:23], v[254:255]
	v_fma_f64 v[58:59], v[58:59], 2.0, -v[62:63]
	v_add_f64 v[64:65], v[60:61], -v[64:65]
	s_delay_alu instid0(VALU_DEP_3) | instskip(SKIP_1) | instid1(VALU_DEP_3)
	v_fma_f64 v[70:71], v[20:21], v[252:253], -v[26:27]
	v_mul_f64 v[20:21], v[20:21], v[254:255]
	v_fma_f64 v[60:61], v[60:61], 2.0, -v[64:65]
	s_delay_alu instid0(VALU_DEP_3) | instskip(NEXT) | instid1(VALU_DEP_3)
	v_add_f64 v[70:71], v[66:67], -v[70:71]
	v_fma_f64 v[72:73], v[22:23], v[252:253], v[20:21]
	ds_load_b128 v[20:23], v240 offset:14976
	s_waitcnt lgkmcnt(0)
	v_mul_f64 v[26:27], v[22:23], v[238:239]
	v_fma_f64 v[66:67], v[66:67], 2.0, -v[70:71]
	v_add_f64 v[72:73], v[68:69], -v[72:73]
	s_delay_alu instid0(VALU_DEP_3) | instskip(SKIP_1) | instid1(VALU_DEP_3)
	v_fma_f64 v[78:79], v[20:21], v[236:237], -v[26:27]
	v_mul_f64 v[20:21], v[20:21], v[238:239]
	v_fma_f64 v[68:69], v[68:69], 2.0, -v[72:73]
	s_delay_alu instid0(VALU_DEP_3) | instskip(NEXT) | instid1(VALU_DEP_3)
	;; [unrolled: 12-line block ×7, first 2 shown]
	v_add_f64 v[173:174], v[169:170], -v[173:174]
	v_fma_f64 v[175:176], v[22:23], v[252:253], v[20:21]
	ds_load_b128 v[20:23], v240
	s_waitcnt lgkmcnt(0)
	s_barrier
	buffer_gl0_inv
	v_add_f64 v[26:27], v[20:21], -v[2:3]
	v_add_f64 v[28:29], v[22:23], -v[28:29]
	v_fma_f64 v[169:170], v[169:170], 2.0, -v[173:174]
	v_add_f64 v[175:176], v[171:172], -v[175:176]
	s_delay_alu instid0(VALU_DEP_4) | instskip(NEXT) | instid1(VALU_DEP_4)
	v_fma_f64 v[20:21], v[20:21], 2.0, -v[26:27]
	v_fma_f64 v[22:23], v[22:23], 2.0, -v[28:29]
	s_delay_alu instid0(VALU_DEP_3)
	v_fma_f64 v[171:172], v[171:172], 2.0, -v[175:176]
	ds_store_b128 v240, v[26:29] offset:4992
	ds_store_b128 v240, v[34:37] offset:5824
	;; [unrolled: 1-line block ×12, first 2 shown]
	ds_store_b128 v240, v[20:23]
	ds_store_b128 v240, v[30:33] offset:832
	ds_store_b128 v240, v[38:41] offset:1664
	;; [unrolled: 1-line block ×11, first 2 shown]
	s_waitcnt lgkmcnt(0)
	s_barrier
	buffer_gl0_inv
	global_load_b128 v[26:29], v[24:25], off offset:1760
	ds_load_b128 v[20:23], v240 offset:9984
	v_add_co_u32 v50, s0, 0x3000, v48
	s_delay_alu instid0(VALU_DEP_1) | instskip(SKIP_1) | instid1(VALU_DEP_1)
	v_add_co_ci_u32_e64 v51, s0, 0, v49, s0
	v_add_co_u32 v64, s0, 0x4000, v48
	v_add_co_ci_u32_e64 v65, s0, 0, v49, s0
	ds_load_b128 v[80:83], v240 offset:1664
	ds_load_b128 v[88:91], v240 offset:2496
	;; [unrolled: 1-line block ×11, first 2 shown]
	s_waitcnt vmcnt(0) lgkmcnt(11)
	v_mul_f64 v[0:1], v[22:23], v[28:29]
	v_mul_f64 v[2:3], v[20:21], v[28:29]
	s_delay_alu instid0(VALU_DEP_2) | instskip(NEXT) | instid1(VALU_DEP_2)
	v_fma_f64 v[0:1], v[20:21], v[26:27], -v[0:1]
	v_fma_f64 v[2:3], v[22:23], v[26:27], v[2:3]
	global_load_b128 v[20:23], v[24:25], off offset:2592
	scratch_store_b128 off, v[26:29], off offset:744 ; 16-byte Folded Spill
	ds_load_b128 v[26:29], v240 offset:10816
	s_waitcnt vmcnt(0)
	scratch_store_b128 off, v[20:23], off offset:844 ; 16-byte Folded Spill
	s_waitcnt lgkmcnt(0)
	v_mul_f64 v[30:31], v[28:29], v[22:23]
	s_delay_alu instid0(VALU_DEP_1) | instskip(SKIP_1) | instid1(VALU_DEP_2)
	v_fma_f64 v[76:77], v[26:27], v[20:21], -v[30:31]
	v_mul_f64 v[26:27], v[26:27], v[22:23]
	v_add_f64 v[76:77], v[72:73], -v[76:77]
	s_delay_alu instid0(VALU_DEP_2) | instskip(SKIP_4) | instid1(VALU_DEP_1)
	v_fma_f64 v[78:79], v[28:29], v[20:21], v[26:27]
	global_load_b128 v[20:23], v[24:25], off offset:3424
	ds_load_b128 v[28:31], v240 offset:11648
	v_fma_f64 v[72:73], v[72:73], 2.0, -v[76:77]
	v_add_f64 v[78:79], v[74:75], -v[78:79]
	v_fma_f64 v[74:75], v[74:75], 2.0, -v[78:79]
	s_waitcnt vmcnt(0) lgkmcnt(0)
	v_mul_f64 v[32:33], v[30:31], v[22:23]
	scratch_store_b128 off, v[20:23], off offset:860 ; 16-byte Folded Spill
	v_fma_f64 v[84:85], v[28:29], v[20:21], -v[32:33]
	v_mul_f64 v[28:29], v[28:29], v[22:23]
	ds_load_b128 v[32:35], v240 offset:12480
	v_add_f64 v[84:85], v[80:81], -v[84:85]
	v_fma_f64 v[86:87], v[30:31], v[20:21], v[28:29]
	global_load_b128 v[20:23], v[50:51], off offset:160
	v_fma_f64 v[80:81], v[80:81], 2.0, -v[84:85]
	v_add_f64 v[86:87], v[82:83], -v[86:87]
	s_delay_alu instid0(VALU_DEP_1)
	v_fma_f64 v[82:83], v[82:83], 2.0, -v[86:87]
	s_waitcnt vmcnt(0) lgkmcnt(0)
	v_mul_f64 v[36:37], v[34:35], v[22:23]
	scratch_store_b128 off, v[20:23], off offset:876 ; 16-byte Folded Spill
	v_fma_f64 v[92:93], v[32:33], v[20:21], -v[36:37]
	v_mul_f64 v[32:33], v[32:33], v[22:23]
	ds_load_b128 v[36:39], v240 offset:13312
	v_add_f64 v[92:93], v[88:89], -v[92:93]
	v_fma_f64 v[94:95], v[34:35], v[20:21], v[32:33]
	global_load_b128 v[20:23], v[50:51], off offset:992
	v_fma_f64 v[88:89], v[88:89], 2.0, -v[92:93]
	v_add_f64 v[94:95], v[90:91], -v[94:95]
	s_delay_alu instid0(VALU_DEP_1)
	;; [unrolled: 13-line block ×4, first 2 shown]
	v_fma_f64 v[159:160], v[159:160], 2.0, -v[163:164]
	s_waitcnt vmcnt(0) lgkmcnt(0)
	v_mul_f64 v[52:53], v[46:47], v[22:23]
	scratch_store_b128 off, v[20:23], off offset:928 ; 16-byte Folded Spill
	v_fma_f64 v[169:170], v[44:45], v[20:21], -v[52:53]
	v_mul_f64 v[44:45], v[44:45], v[22:23]
	s_delay_alu instid0(VALU_DEP_2) | instskip(NEXT) | instid1(VALU_DEP_2)
	v_add_f64 v[169:170], v[165:166], -v[169:170]
	v_fma_f64 v[171:172], v[46:47], v[20:21], v[44:45]
	global_load_b128 v[20:23], v[50:51], off offset:3488
	ds_load_b128 v[50:53], v240 offset:15808
	v_fma_f64 v[165:166], v[165:166], 2.0, -v[169:170]
	v_add_f64 v[171:172], v[167:168], -v[171:172]
	s_delay_alu instid0(VALU_DEP_1)
	v_fma_f64 v[167:168], v[167:168], 2.0, -v[171:172]
	s_waitcnt vmcnt(0) lgkmcnt(0)
	v_mul_f64 v[54:55], v[52:53], v[22:23]
	scratch_store_b128 off, v[20:23], off offset:944 ; 16-byte Folded Spill
	v_fma_f64 v[177:178], v[50:51], v[20:21], -v[54:55]
	v_mul_f64 v[50:51], v[50:51], v[22:23]
	s_delay_alu instid0(VALU_DEP_2) | instskip(NEXT) | instid1(VALU_DEP_2)
	v_add_f64 v[177:178], v[173:174], -v[177:178]
	v_fma_f64 v[179:180], v[52:53], v[20:21], v[50:51]
	global_load_b128 v[48:51], v[64:65], off offset:224
	ds_load_b128 v[52:55], v240 offset:16640
	v_add_co_u32 v20, s0, s8, v148
	s_delay_alu instid0(VALU_DEP_1) | instskip(SKIP_2) | instid1(VALU_DEP_1)
	v_add_co_ci_u32_e64 v21, null, s9, 0, s0
	v_fma_f64 v[173:174], v[173:174], 2.0, -v[177:178]
	v_add_f64 v[179:180], v[175:176], -v[179:180]
	v_fma_f64 v[175:176], v[175:176], 2.0, -v[179:180]
	s_waitcnt vmcnt(0) lgkmcnt(0)
	v_mul_f64 v[56:57], v[54:55], v[50:51]
	s_delay_alu instid0(VALU_DEP_1)
	v_fma_f64 v[185:186], v[52:53], v[48:49], -v[56:57]
	v_mul_f64 v[52:53], v[52:53], v[50:51]
	ds_load_b128 v[56:59], v240 offset:17472
	v_add_f64 v[185:186], v[181:182], -v[185:186]
	v_fma_f64 v[187:188], v[54:55], v[48:49], v[52:53]
	global_load_b128 v[52:55], v[64:65], off offset:1056
	v_fma_f64 v[181:182], v[181:182], 2.0, -v[185:186]
	v_add_f64 v[187:188], v[183:184], -v[187:188]
	s_delay_alu instid0(VALU_DEP_1) | instskip(SKIP_2) | instid1(VALU_DEP_1)
	v_fma_f64 v[183:184], v[183:184], 2.0, -v[187:188]
	s_waitcnt vmcnt(0) lgkmcnt(0)
	v_mul_f64 v[60:61], v[58:59], v[54:55]
	v_fma_f64 v[189:190], v[56:57], v[52:53], -v[60:61]
	v_mul_f64 v[56:57], v[56:57], v[54:55]
	ds_load_b128 v[60:63], v240 offset:18304
	v_add_f64 v[212:213], v[196:197], -v[189:190]
	v_fma_f64 v[214:215], v[58:59], v[52:53], v[56:57]
	global_load_b128 v[56:59], v[64:65], off offset:1888
	v_fma_f64 v[196:197], v[196:197], 2.0, -v[212:213]
	v_add_f64 v[214:215], v[198:199], -v[214:215]
	s_delay_alu instid0(VALU_DEP_1) | instskip(SKIP_2) | instid1(VALU_DEP_1)
	v_fma_f64 v[198:199], v[198:199], 2.0, -v[214:215]
	s_waitcnt vmcnt(0) lgkmcnt(0)
	v_mul_f64 v[66:67], v[62:63], v[58:59]
	v_fma_f64 v[220:221], v[60:61], v[56:57], -v[66:67]
	v_mul_f64 v[60:61], v[60:61], v[58:59]
	s_delay_alu instid0(VALU_DEP_2) | instskip(NEXT) | instid1(VALU_DEP_2)
	v_add_f64 v[220:221], v[216:217], -v[220:221]
	v_fma_f64 v[222:223], v[62:63], v[56:57], v[60:61]
	global_load_b128 v[60:63], v[64:65], off offset:2720
	ds_load_b128 v[64:67], v240 offset:19136
	v_fma_f64 v[216:217], v[216:217], 2.0, -v[220:221]
	v_add_f64 v[222:223], v[218:219], -v[222:223]
	s_delay_alu instid0(VALU_DEP_1) | instskip(SKIP_2) | instid1(VALU_DEP_1)
	v_fma_f64 v[218:219], v[218:219], 2.0, -v[222:223]
	s_waitcnt vmcnt(0) lgkmcnt(0)
	v_mul_f64 v[68:69], v[66:67], v[62:63]
	v_fma_f64 v[224:225], v[64:65], v[60:61], -v[68:69]
	v_mul_f64 v[64:65], v[64:65], v[62:63]
	s_delay_alu instid0(VALU_DEP_2) | instskip(NEXT) | instid1(VALU_DEP_2)
	v_add_f64 v[224:225], v[228:229], -v[224:225]
	v_fma_f64 v[226:227], v[66:67], v[60:61], v[64:65]
	ds_load_b128 v[64:67], v240
	s_waitcnt lgkmcnt(0)
	v_add_f64 v[68:69], v[64:65], -v[0:1]
	v_add_f64 v[70:71], v[66:67], -v[2:3]
	v_fma_f64 v[228:229], v[228:229], 2.0, -v[224:225]
	v_add_f64 v[226:227], v[230:231], -v[226:227]
	s_delay_alu instid0(VALU_DEP_4) | instskip(NEXT) | instid1(VALU_DEP_4)
	v_fma_f64 v[64:65], v[64:65], 2.0, -v[68:69]
	v_fma_f64 v[66:67], v[66:67], 2.0, -v[70:71]
	s_delay_alu instid0(VALU_DEP_3)
	v_fma_f64 v[230:231], v[230:231], 2.0, -v[226:227]
	ds_store_b128 v240, v[68:71] offset:9984
	ds_store_b128 v240, v[76:79] offset:10816
	;; [unrolled: 1-line block ×12, first 2 shown]
	ds_store_b128 v240, v[64:67]
	ds_store_b128 v240, v[72:75] offset:832
	ds_store_b128 v240, v[80:83] offset:1664
	;; [unrolled: 1-line block ×11, first 2 shown]
	s_waitcnt lgkmcnt(0)
	s_waitcnt_vscnt null, 0x0
	s_barrier
	buffer_gl0_inv
	global_load_b128 v[66:69], v148, s[8:9]
	ds_load_b128 v[70:73], v240
	ds_load_b128 v[78:81], v240 offset:832
	v_add_co_u32 v152, s0, 0x2000, v20
	s_delay_alu instid0(VALU_DEP_1)
	v_add_co_ci_u32_e64 v153, s0, 0, v21, s0
	ds_load_b128 v[74:77], v240 offset:9984
	ds_load_b128 v[244:247], v240 offset:8320
	ds_load_b128 v[82:85], v240 offset:10816
	ds_load_b128 v[90:93], v240 offset:11648
	ds_load_b128 v[86:89], v240 offset:1664
	ds_load_b128 v[154:157], v240 offset:2496
	ds_load_b128 v[170:173], v240 offset:14144
	ds_load_b128 v[182:185], v240 offset:14976
	ds_load_b128 v[176:179], v240 offset:4992
	ds_load_b128 v[188:191], v240 offset:5824
	ds_load_b128 v[212:215], v240 offset:15808
	ds_load_b128 v[220:223], v240 offset:16640
	ds_load_b128 v[216:219], v240 offset:6656
	ds_load_b128 v[224:227], v240 offset:7488
	ds_load_b128 v[228:231], v240 offset:17472
	ds_load_b128 v[248:251], v240 offset:18304
	ds_load_b128 v[158:161], v240 offset:13312
	ds_load_b128 v[164:167], v240 offset:4160
	s_waitcnt vmcnt(0) lgkmcnt(19)
	v_mul_f64 v[0:1], v[72:73], v[68:69]
	v_mul_f64 v[2:3], v[70:71], v[68:69]
	s_delay_alu instid0(VALU_DEP_2) | instskip(NEXT) | instid1(VALU_DEP_2)
	v_fma_f64 v[64:65], v[70:71], v[66:67], -v[0:1]
	v_fma_f64 v[66:67], v[72:73], v[66:67], v[2:3]
	global_load_b128 v[70:73], v[152:153], off offset:1792
	s_waitcnt vmcnt(0) lgkmcnt(17)
	v_mul_f64 v[0:1], v[76:77], v[72:73]
	v_mul_f64 v[2:3], v[74:75], v[72:73]
	s_delay_alu instid0(VALU_DEP_2) | instskip(NEXT) | instid1(VALU_DEP_2)
	v_fma_f64 v[68:69], v[74:75], v[70:71], -v[0:1]
	v_fma_f64 v[70:71], v[76:77], v[70:71], v[2:3]
	global_load_b128 v[74:77], v148, s[8:9] offset:832
	s_waitcnt vmcnt(0)
	v_mul_f64 v[0:1], v[80:81], v[76:77]
	v_mul_f64 v[2:3], v[78:79], v[76:77]
	s_delay_alu instid0(VALU_DEP_2) | instskip(NEXT) | instid1(VALU_DEP_2)
	v_fma_f64 v[72:73], v[78:79], v[74:75], -v[0:1]
	v_fma_f64 v[74:75], v[80:81], v[74:75], v[2:3]
	global_load_b128 v[78:81], v[152:153], off offset:2624
	s_waitcnt vmcnt(0) lgkmcnt(15)
	v_mul_f64 v[0:1], v[84:85], v[80:81]
	v_mul_f64 v[2:3], v[82:83], v[80:81]
	s_delay_alu instid0(VALU_DEP_2) | instskip(NEXT) | instid1(VALU_DEP_2)
	v_fma_f64 v[76:77], v[82:83], v[78:79], -v[0:1]
	v_fma_f64 v[78:79], v[84:85], v[78:79], v[2:3]
	global_load_b128 v[82:85], v148, s[8:9] offset:1664
	s_waitcnt vmcnt(0) lgkmcnt(13)
	v_mul_f64 v[0:1], v[88:89], v[84:85]
	v_mul_f64 v[2:3], v[86:87], v[84:85]
	s_delay_alu instid0(VALU_DEP_2) | instskip(NEXT) | instid1(VALU_DEP_2)
	v_fma_f64 v[80:81], v[86:87], v[82:83], -v[0:1]
	v_fma_f64 v[82:83], v[88:89], v[82:83], v[2:3]
	global_load_b128 v[86:89], v[152:153], off offset:3456
	s_waitcnt vmcnt(0)
	v_mul_f64 v[0:1], v[92:93], v[88:89]
	v_mul_f64 v[2:3], v[90:91], v[88:89]
	s_delay_alu instid0(VALU_DEP_2) | instskip(NEXT) | instid1(VALU_DEP_2)
	v_fma_f64 v[84:85], v[90:91], v[86:87], -v[0:1]
	v_fma_f64 v[86:87], v[92:93], v[86:87], v[2:3]
	global_load_b128 v[90:93], v148, s[8:9] offset:2496
	s_waitcnt vmcnt(0) lgkmcnt(12)
	v_mul_f64 v[0:1], v[156:157], v[92:93]
	v_mul_f64 v[2:3], v[154:155], v[92:93]
	ds_load_b128 v[92:95], v240 offset:12480
	v_fma_f64 v[88:89], v[154:155], v[90:91], -v[0:1]
	v_add_co_u32 v0, s0, 0x3000, v20
	s_delay_alu instid0(VALU_DEP_1)
	v_add_co_ci_u32_e64 v1, s0, 0, v21, s0
	v_fma_f64 v[90:91], v[156:157], v[90:91], v[2:3]
	s_clause 0x1
	global_load_b128 v[154:157], v[0:1], off offset:192
	global_load_b128 v[196:199], v[0:1], off offset:3520
	s_waitcnt vmcnt(1) lgkmcnt(0)
	v_mul_f64 v[2:3], v[94:95], v[156:157]
	v_mul_f64 v[149:150], v[92:93], v[156:157]
	s_delay_alu instid0(VALU_DEP_2) | instskip(NEXT) | instid1(VALU_DEP_2)
	v_fma_f64 v[92:93], v[92:93], v[154:155], -v[2:3]
	v_fma_f64 v[94:95], v[94:95], v[154:155], v[149:150]
	global_load_b128 v[154:157], v148, s[8:9] offset:3328
	ds_load_b128 v[148:151], v240 offset:3328
	s_waitcnt vmcnt(0) lgkmcnt(0)
	v_mul_f64 v[2:3], v[150:151], v[156:157]
	v_mul_f64 v[156:157], v[148:149], v[156:157]
	s_delay_alu instid0(VALU_DEP_2)
	v_fma_f64 v[148:149], v[148:149], v[154:155], -v[2:3]
	scratch_load_b32 v2, off, off offset:736 ; 4-byte Folded Reload
	v_fma_f64 v[150:151], v[150:151], v[154:155], v[156:157]
	s_waitcnt vmcnt(0)
	global_load_b128 v[154:157], v2, s[8:9]
	s_waitcnt vmcnt(0)
	v_mul_f64 v[2:3], v[160:161], v[156:157]
	v_mul_f64 v[162:163], v[158:159], v[156:157]
	s_delay_alu instid0(VALU_DEP_2) | instskip(SKIP_1) | instid1(VALU_DEP_1)
	v_fma_f64 v[156:157], v[158:159], v[154:155], -v[2:3]
	v_add_co_u32 v2, s0, 0x1000, v20
	v_add_co_ci_u32_e64 v3, s0, 0, v21, s0
	s_delay_alu instid0(VALU_DEP_4) | instskip(SKIP_4) | instid1(VALU_DEP_2)
	v_fma_f64 v[158:159], v[160:161], v[154:155], v[162:163]
	global_load_b128 v[160:163], v[2:3], off offset:64
	s_waitcnt vmcnt(0)
	v_mul_f64 v[154:155], v[166:167], v[162:163]
	v_mul_f64 v[168:169], v[164:165], v[162:163]
	v_fma_f64 v[162:163], v[164:165], v[160:161], -v[154:155]
	s_delay_alu instid0(VALU_DEP_2) | instskip(SKIP_4) | instid1(VALU_DEP_2)
	v_fma_f64 v[164:165], v[166:167], v[160:161], v[168:169]
	global_load_b128 v[166:169], v[0:1], off offset:1856
	s_waitcnt vmcnt(0)
	v_mul_f64 v[154:155], v[172:173], v[168:169]
	v_mul_f64 v[160:161], v[170:171], v[168:169]
	v_fma_f64 v[168:169], v[170:171], v[166:167], -v[154:155]
	s_delay_alu instid0(VALU_DEP_2) | instskip(SKIP_4) | instid1(VALU_DEP_2)
	v_fma_f64 v[170:171], v[172:173], v[166:167], v[160:161]
	global_load_b128 v[172:175], v[2:3], off offset:896
	s_waitcnt vmcnt(0)
	v_mul_f64 v[154:155], v[178:179], v[174:175]
	v_mul_f64 v[160:161], v[176:177], v[174:175]
	v_fma_f64 v[174:175], v[176:177], v[172:173], -v[154:155]
	s_delay_alu instid0(VALU_DEP_2)
	v_fma_f64 v[176:177], v[178:179], v[172:173], v[160:161]
	global_load_b128 v[178:181], v[0:1], off offset:2688
	v_mul_f64 v[0:1], v[214:215], v[198:199]
	s_waitcnt vmcnt(0)
	v_mul_f64 v[154:155], v[184:185], v[180:181]
	v_mul_f64 v[160:161], v[182:183], v[180:181]
	s_delay_alu instid0(VALU_DEP_2) | instskip(NEXT) | instid1(VALU_DEP_2)
	v_fma_f64 v[180:181], v[182:183], v[178:179], -v[154:155]
	v_fma_f64 v[182:183], v[184:185], v[178:179], v[160:161]
	global_load_b128 v[184:187], v[2:3], off offset:1728
	s_waitcnt vmcnt(0)
	v_mul_f64 v[154:155], v[190:191], v[186:187]
	v_mul_f64 v[160:161], v[188:189], v[186:187]
	s_delay_alu instid0(VALU_DEP_2) | instskip(SKIP_2) | instid1(VALU_DEP_4)
	v_fma_f64 v[186:187], v[188:189], v[184:185], -v[154:155]
	v_mul_f64 v[154:155], v[212:213], v[198:199]
	v_fma_f64 v[212:213], v[212:213], v[196:197], -v[0:1]
	v_fma_f64 v[188:189], v[190:191], v[184:185], v[160:161]
	s_delay_alu instid0(VALU_DEP_3) | instskip(SKIP_4) | instid1(VALU_DEP_2)
	v_fma_f64 v[214:215], v[214:215], v[196:197], v[154:155]
	global_load_b128 v[196:199], v[2:3], off offset:2560
	s_waitcnt vmcnt(0)
	v_mul_f64 v[0:1], v[218:219], v[198:199]
	v_mul_f64 v[154:155], v[216:217], v[198:199]
	v_fma_f64 v[216:217], v[216:217], v[196:197], -v[0:1]
	v_add_co_u32 v0, s0, 0x4000, v20
	s_delay_alu instid0(VALU_DEP_1) | instskip(NEXT) | instid1(VALU_DEP_4)
	v_add_co_ci_u32_e64 v1, s0, 0, v21, s0
	v_fma_f64 v[218:219], v[218:219], v[196:197], v[154:155]
	global_load_b128 v[196:199], v[0:1], off offset:256
	s_waitcnt vmcnt(0)
	v_mul_f64 v[154:155], v[222:223], v[198:199]
	v_mul_f64 v[160:161], v[220:221], v[198:199]
	s_delay_alu instid0(VALU_DEP_2) | instskip(NEXT) | instid1(VALU_DEP_2)
	v_fma_f64 v[220:221], v[220:221], v[196:197], -v[154:155]
	v_fma_f64 v[222:223], v[222:223], v[196:197], v[160:161]
	global_load_b128 v[196:199], v[2:3], off offset:3392
	s_waitcnt vmcnt(0)
	v_mul_f64 v[2:3], v[226:227], v[198:199]
	v_mul_f64 v[154:155], v[224:225], v[198:199]
	s_delay_alu instid0(VALU_DEP_2) | instskip(NEXT) | instid1(VALU_DEP_2)
	v_fma_f64 v[224:225], v[224:225], v[196:197], -v[2:3]
	;; [unrolled: 7-line block ×4, first 2 shown]
	v_fma_f64 v[246:247], v[246:247], v[196:197], v[154:155]
	global_load_b128 v[196:199], v[0:1], off offset:1920
	s_waitcnt vmcnt(0)
	v_mul_f64 v[154:155], v[248:249], v[198:199]
	v_mul_f64 v[2:3], v[250:251], v[198:199]
	s_delay_alu instid0(VALU_DEP_2)
	v_fma_f64 v[250:251], v[250:251], v[196:197], v[154:155]
	global_load_b128 v[152:155], v[152:153], off offset:960
	v_fma_f64 v[248:249], v[248:249], v[196:197], -v[2:3]
	ds_load_b128 v[196:199], v240 offset:9152
	s_waitcnt vmcnt(0) lgkmcnt(0)
	v_mul_f64 v[2:3], v[198:199], v[154:155]
	v_mul_f64 v[154:155], v[196:197], v[154:155]
	s_delay_alu instid0(VALU_DEP_2) | instskip(NEXT) | instid1(VALU_DEP_2)
	v_fma_f64 v[196:197], v[196:197], v[152:153], -v[2:3]
	v_fma_f64 v[198:199], v[198:199], v[152:153], v[154:155]
	global_load_b128 v[152:155], v[0:1], off offset:2752
	ds_load_b128 v[0:3], v240 offset:19136
	s_waitcnt vmcnt(0) lgkmcnt(0)
	v_mul_f64 v[160:161], v[2:3], v[154:155]
	v_mul_f64 v[154:155], v[0:1], v[154:155]
	s_delay_alu instid0(VALU_DEP_2) | instskip(NEXT) | instid1(VALU_DEP_2)
	v_fma_f64 v[0:1], v[0:1], v[152:153], -v[160:161]
	v_fma_f64 v[2:3], v[2:3], v[152:153], v[154:155]
	ds_store_b128 v240, v[64:67]
	ds_store_b128 v240, v[72:75] offset:832
	ds_store_b128 v240, v[68:71] offset:9984
	;; [unrolled: 1-line block ×23, first 2 shown]
	s_waitcnt lgkmcnt(0)
	s_barrier
	buffer_gl0_inv
	ds_load_b128 v[0:3], v240 offset:9984
	ds_load_b128 v[64:67], v240
	ds_load_b128 v[68:71], v240 offset:832
	ds_load_b128 v[72:75], v240 offset:10816
	;; [unrolled: 1-line block ×22, first 2 shown]
	s_waitcnt lgkmcnt(0)
	s_barrier
	buffer_gl0_inv
	scratch_load_b32 v20, off, off offset:740 ; 4-byte Folded Reload
	v_add_f64 v[0:1], v[64:65], -v[0:1]
	v_add_f64 v[2:3], v[66:67], -v[2:3]
	s_delay_alu instid0(VALU_DEP_2) | instskip(NEXT) | instid1(VALU_DEP_2)
	v_fma_f64 v[64:65], v[64:65], 2.0, -v[0:1]
	v_fma_f64 v[66:67], v[66:67], 2.0, -v[2:3]
	s_waitcnt vmcnt(0)
	ds_store_b128 v20, v[0:3] offset:16
	ds_store_b128 v20, v[64:67]
	v_add_f64 v[0:1], v[68:69], -v[72:73]
	v_add_f64 v[2:3], v[70:71], -v[74:75]
	s_delay_alu instid0(VALU_DEP_2) | instskip(NEXT) | instid1(VALU_DEP_2)
	v_fma_f64 v[64:65], v[68:69], 2.0, -v[0:1]
	v_fma_f64 v[66:67], v[70:71], 2.0, -v[2:3]
	ds_store_b128 v241, v[64:67]
	ds_store_b128 v241, v[0:3] offset:16
	scratch_load_b32 v20, off, off offset:1020 ; 4-byte Folded Reload
	v_add_f64 v[0:1], v[76:77], -v[84:85]
	v_add_f64 v[2:3], v[78:79], -v[86:87]
	s_delay_alu instid0(VALU_DEP_2) | instskip(NEXT) | instid1(VALU_DEP_2)
	v_fma_f64 v[64:65], v[76:77], 2.0, -v[0:1]
	v_fma_f64 v[66:67], v[78:79], 2.0, -v[2:3]
	s_waitcnt vmcnt(0)
	ds_store_b128 v20, v[64:67]
	ds_store_b128 v20, v[0:3] offset:16
	scratch_load_b32 v20, off, off offset:1016 ; 4-byte Folded Reload
	v_add_f64 v[0:1], v[80:81], -v[88:89]
	v_add_f64 v[2:3], v[82:83], -v[90:91]
	s_delay_alu instid0(VALU_DEP_2) | instskip(NEXT) | instid1(VALU_DEP_2)
	v_fma_f64 v[64:65], v[80:81], 2.0, -v[0:1]
	v_fma_f64 v[66:67], v[82:83], 2.0, -v[2:3]
	s_waitcnt vmcnt(0)
	;; [unrolled: 9-line block ×10, first 2 shown]
	ds_store_b128 v20, v[64:67]
	ds_store_b128 v20, v[0:3] offset:16
	s_waitcnt lgkmcnt(0)
	s_barrier
	buffer_gl0_inv
	ds_load_b128 v[0:3], v240 offset:9984
	s_waitcnt lgkmcnt(0)
	v_mul_f64 v[64:65], v[234:235], v[2:3]
	s_delay_alu instid0(VALU_DEP_1) | instskip(SKIP_1) | instid1(VALU_DEP_1)
	v_fma_f64 v[64:65], v[232:233], v[0:1], v[64:65]
	v_mul_f64 v[0:1], v[234:235], v[0:1]
	v_fma_f64 v[66:67], v[232:233], v[2:3], -v[0:1]
	ds_load_b128 v[0:3], v240 offset:10816
	s_waitcnt lgkmcnt(0)
	v_mul_f64 v[68:69], v[234:235], v[2:3]
	s_delay_alu instid0(VALU_DEP_1) | instskip(SKIP_1) | instid1(VALU_DEP_1)
	v_fma_f64 v[164:165], v[232:233], v[0:1], v[68:69]
	v_mul_f64 v[0:1], v[234:235], v[0:1]
	v_fma_f64 v[166:167], v[232:233], v[2:3], -v[0:1]
	;; [unrolled: 7-line block ×12, first 2 shown]
	ds_load_b128 v[0:3], v240
	ds_load_b128 v[68:71], v240 offset:832
	ds_load_b128 v[72:75], v240 offset:1664
	;; [unrolled: 1-line block ×11, first 2 shown]
	s_waitcnt lgkmcnt(0)
	s_barrier
	buffer_gl0_inv
	scratch_load_b32 v20, off, off offset:816 ; 4-byte Folded Reload
	v_add_f64 v[232:233], v[88:89], -v[184:185]
	v_add_f64 v[234:235], v[90:91], -v[186:187]
	;; [unrolled: 1-line block ×4, first 2 shown]
	s_delay_alu instid0(VALU_DEP_2) | instskip(NEXT) | instid1(VALU_DEP_2)
	v_fma_f64 v[0:1], v[0:1], 2.0, -v[64:65]
	v_fma_f64 v[2:3], v[2:3], 2.0, -v[66:67]
	s_waitcnt vmcnt(0)
	ds_store_b128 v20, v[64:67] offset:32
	ds_store_b128 v20, v[0:3]
	scratch_load_b32 v20, off, off offset:964 ; 4-byte Folded Reload
	v_add_f64 v[0:1], v[68:69], -v[164:165]
	v_add_f64 v[2:3], v[70:71], -v[166:167]
	s_delay_alu instid0(VALU_DEP_2) | instskip(NEXT) | instid1(VALU_DEP_2)
	v_fma_f64 v[64:65], v[68:69], 2.0, -v[0:1]
	v_fma_f64 v[66:67], v[70:71], 2.0, -v[2:3]
	v_add_f64 v[68:69], v[92:93], -v[188:189]
	v_add_f64 v[70:71], v[94:95], -v[190:191]
	;; [unrolled: 1-line block ×4, first 2 shown]
	s_waitcnt vmcnt(0)
	ds_store_b128 v20, v[64:67]
	ds_store_b128 v20, v[0:3] offset:32
	scratch_load_b32 v20, off, off offset:960 ; 4-byte Folded Reload
	v_add_f64 v[0:1], v[72:73], -v[168:169]
	v_add_f64 v[2:3], v[74:75], -v[170:171]
	s_delay_alu instid0(VALU_DEP_2) | instskip(NEXT) | instid1(VALU_DEP_2)
	v_fma_f64 v[64:65], v[72:73], 2.0, -v[0:1]
	v_fma_f64 v[66:67], v[74:75], 2.0, -v[2:3]
	s_waitcnt vmcnt(0)
	ds_store_b128 v20, v[64:67]
	ds_store_b128 v20, v[0:3] offset:32
	scratch_load_b32 v20, off, off offset:892 ; 4-byte Folded Reload
	v_add_f64 v[0:1], v[76:77], -v[172:173]
	v_add_f64 v[2:3], v[78:79], -v[174:175]
	s_delay_alu instid0(VALU_DEP_2) | instskip(NEXT) | instid1(VALU_DEP_2)
	v_fma_f64 v[64:65], v[76:77], 2.0, -v[0:1]
	v_fma_f64 v[66:67], v[78:79], 2.0, -v[2:3]
	v_add_f64 v[76:77], v[148:149], -v[196:197]
	v_add_f64 v[78:79], v[150:151], -v[198:199]
	s_waitcnt vmcnt(0)
	ds_store_b128 v20, v[64:67]
	ds_store_b128 v20, v[0:3] offset:32
	scratch_load_b32 v20, off, off offset:840 ; 4-byte Folded Reload
	v_add_f64 v[0:1], v[80:81], -v[176:177]
	v_add_f64 v[2:3], v[82:83], -v[178:179]
	v_fma_f64 v[72:73], v[148:149], 2.0, -v[76:77]
	v_fma_f64 v[74:75], v[150:151], 2.0, -v[78:79]
	s_delay_alu instid0(VALU_DEP_4) | instskip(NEXT) | instid1(VALU_DEP_4)
	v_fma_f64 v[64:65], v[80:81], 2.0, -v[0:1]
	v_fma_f64 v[66:67], v[82:83], 2.0, -v[2:3]
	v_fma_f64 v[80:81], v[152:153], 2.0, -v[188:189]
	v_fma_f64 v[82:83], v[154:155], 2.0, -v[190:191]
	s_waitcnt vmcnt(0)
	ds_store_b128 v20, v[64:67]
	ds_store_b128 v20, v[0:3] offset:32
	scratch_load_b32 v20, off, off offset:836 ; 4-byte Folded Reload
	v_add_f64 v[0:1], v[84:85], -v[180:181]
	v_add_f64 v[2:3], v[86:87], -v[182:183]
	s_delay_alu instid0(VALU_DEP_2) | instskip(NEXT) | instid1(VALU_DEP_2)
	v_fma_f64 v[64:65], v[84:85], 2.0, -v[0:1]
	v_fma_f64 v[66:67], v[86:87], 2.0, -v[2:3]
	v_add_f64 v[84:85], v[160:161], -v[220:221]
	v_add_f64 v[86:87], v[162:163], -v[222:223]
	s_waitcnt vmcnt(0)
	ds_store_b128 v20, v[64:67]
	ds_store_b128 v20, v[0:3] offset:32
	scratch_load_b32 v20, off, off offset:832 ; 4-byte Folded Reload
	v_fma_f64 v[0:1], v[88:89], 2.0, -v[232:233]
	v_fma_f64 v[2:3], v[90:91], 2.0, -v[234:235]
	;; [unrolled: 1-line block ×4, first 2 shown]
	v_add_f64 v[92:93], v[156:157], -v[216:217]
	v_add_f64 v[94:95], v[158:159], -v[218:219]
	v_fma_f64 v[88:89], v[160:161], 2.0, -v[84:85]
	v_fma_f64 v[90:91], v[162:163], 2.0, -v[86:87]
	s_waitcnt vmcnt(0)
	ds_store_b128 v20, v[0:3]
	ds_store_b128 v20, v[232:235] offset:32
	scratch_load_b32 v0, off, off offset:828 ; 4-byte Folded Reload
	v_fma_f64 v[196:197], v[156:157], 2.0, -v[92:93]
	v_fma_f64 v[198:199], v[158:159], 2.0, -v[94:95]
	s_waitcnt vmcnt(0)
	ds_store_b128 v0, v[64:67]
	ds_store_b128 v0, v[68:71] offset:32
	scratch_load_b32 v0, off, off offset:824 ; 4-byte Folded Reload
	s_waitcnt vmcnt(0)
	ds_store_b128 v0, v[72:75]
	ds_store_b128 v0, v[76:79] offset:32
	scratch_load_b32 v0, off, off offset:820 ; 4-byte Folded Reload
	;; [unrolled: 4-line block ×4, first 2 shown]
	s_waitcnt vmcnt(0)
	ds_store_b128 v0, v[88:91]
	ds_store_b128 v0, v[84:87] offset:32
	s_waitcnt lgkmcnt(0)
	s_barrier
	buffer_gl0_inv
	ds_load_b128 v[152:155], v240
	ds_load_b128 v[220:223], v240 offset:1536
	ds_load_b128 v[216:219], v240 offset:3072
	;; [unrolled: 1-line block ×12, first 2 shown]
	s_and_saveexec_b32 s0, vcc_lo
	s_cbranch_execz .LBB0_7
; %bb.6:
	ds_load_b128 v[232:235], v240 offset:832
	ds_load_b128 v[64:67], v240 offset:2368
	;; [unrolled: 1-line block ×12, first 2 shown]
	s_waitcnt lgkmcnt(0)
	scratch_store_b128 off, v[0:3], off offset:24 ; 16-byte Folded Spill
	ds_load_b128 v[0:3], v240 offset:19264
	s_waitcnt lgkmcnt(0)
	scratch_store_b128 off, v[0:3], off offset:8 ; 16-byte Folded Spill
.LBB0_7:
	s_or_b32 exec_lo, exec_lo, s0
	s_clause 0x2
	scratch_load_b128 v[96:99], off, off offset:1028
	scratch_load_b128 v[100:103], off, off offset:1044
	;; [unrolled: 1-line block ×3, first 2 shown]
	s_mov_b32 s18, 0x66966769
	s_mov_b32 s19, 0xbfefc445
	;; [unrolled: 1-line block ×35, first 2 shown]
	s_waitcnt vmcnt(0) lgkmcnt(0)
	s_waitcnt_vscnt null, 0x0
	s_barrier
	buffer_gl0_inv
	v_mul_f64 v[0:1], v[98:99], v[222:223]
	v_mul_f64 v[2:3], v[98:99], v[220:221]
	s_delay_alu instid0(VALU_DEP_2) | instskip(SKIP_1) | instid1(VALU_DEP_3)
	v_fma_f64 v[0:1], v[96:97], v[220:221], v[0:1]
	v_mul_f64 v[220:221], v[106:107], v[218:219]
	v_fma_f64 v[2:3], v[96:97], v[222:223], -v[2:3]
	s_delay_alu instid0(VALU_DEP_2) | instskip(SKIP_1) | instid1(VALU_DEP_1)
	v_fma_f64 v[220:221], v[104:105], v[216:217], v[220:221]
	v_mul_f64 v[216:217], v[106:107], v[216:217]
	v_fma_f64 v[218:219], v[104:105], v[218:219], -v[216:217]
	v_mul_f64 v[216:217], v[114:115], v[214:215]
	s_delay_alu instid0(VALU_DEP_1) | instskip(SKIP_1) | instid1(VALU_DEP_1)
	v_fma_f64 v[216:217], v[112:113], v[212:213], v[216:217]
	v_mul_f64 v[212:213], v[114:115], v[212:213]
	v_fma_f64 v[214:215], v[112:113], v[214:215], -v[212:213]
	v_mul_f64 v[212:213], v[122:123], v[186:187]
	s_delay_alu instid0(VALU_DEP_1) | instskip(SKIP_1) | instid1(VALU_DEP_1)
	;; [unrolled: 5-line block ×8, first 2 shown]
	v_fma_f64 v[166:167], v[116:117], v[160:161], v[166:167]
	v_mul_f64 v[160:161], v[118:119], v[160:161]
	v_fma_f64 v[160:161], v[116:117], v[162:163], -v[160:161]
	v_mul_f64 v[162:163], v[110:111], v[158:159]
	s_delay_alu instid0(VALU_DEP_1) | instskip(SKIP_1) | instid1(VALU_DEP_2)
	v_fma_f64 v[162:163], v[108:109], v[156:157], v[162:163]
	v_mul_f64 v[156:157], v[110:111], v[156:157]
	v_add_f64 v[46:47], v[220:221], v[162:163]
	s_delay_alu instid0(VALU_DEP_2) | instskip(SKIP_1) | instid1(VALU_DEP_1)
	v_fma_f64 v[156:157], v[108:109], v[158:159], -v[156:157]
	v_mul_f64 v[158:159], v[102:103], v[150:151]
	v_fma_f64 v[158:159], v[100:101], v[148:149], v[158:159]
	v_mul_f64 v[148:149], v[102:103], v[148:149]
	s_delay_alu instid0(VALU_DEP_2) | instskip(NEXT) | instid1(VALU_DEP_2)
	v_add_f64 v[224:225], v[0:1], v[158:159]
	v_fma_f64 v[222:223], v[100:101], v[150:151], -v[148:149]
	v_add_f64 v[148:149], v[152:153], v[0:1]
	v_add_f64 v[150:151], v[154:155], v[2:3]
	v_add_f64 v[0:1], v[0:1], -v[158:159]
	s_delay_alu instid0(VALU_DEP_4) | instskip(NEXT) | instid1(VALU_DEP_4)
	v_add_f64 v[226:227], v[2:3], v[222:223]
	v_add_f64 v[148:149], v[148:149], v[220:221]
	s_delay_alu instid0(VALU_DEP_4) | instskip(SKIP_1) | instid1(VALU_DEP_4)
	v_add_f64 v[150:151], v[150:151], v[218:219]
	v_add_f64 v[2:3], v[2:3], -v[222:223]
	v_mul_f64 v[228:229], v[226:227], s[26:27]
	s_delay_alu instid0(VALU_DEP_4) | instskip(NEXT) | instid1(VALU_DEP_4)
	v_add_f64 v[148:149], v[148:149], v[216:217]
	v_add_f64 v[150:151], v[150:151], v[214:215]
	s_delay_alu instid0(VALU_DEP_4)
	v_mul_f64 v[241:242], v[2:3], s[18:19]
	v_mul_f64 v[244:245], v[2:3], s[16:17]
	;; [unrolled: 1-line block ×7, first 2 shown]
	v_fma_f64 v[230:231], v[0:1], s[30:31], v[228:229]
	v_add_f64 v[148:149], v[148:149], v[212:213]
	v_add_f64 v[150:151], v[150:151], v[186:187]
	v_fma_f64 v[20:21], v[224:225], s[8:9], v[241:242]
	v_fma_f64 v[26:27], v[224:225], s[8:9], -v[241:242]
	v_mul_f64 v[241:242], v[2:3], s[20:21]
	v_fma_f64 v[246:247], v[224:225], s[0:1], v[244:245]
	v_fma_f64 v[244:245], v[224:225], s[0:1], -v[244:245]
	v_fma_f64 v[228:229], v[0:1], s[28:29], v[228:229]
	v_fma_f64 v[250:251], v[0:1], s[38:39], v[248:249]
	v_fma_f64 v[248:249], v[0:1], s[16:17], v[248:249]
	v_fma_f64 v[24:25], v[0:1], s[34:35], v[22:23]
	v_fma_f64 v[22:23], v[0:1], s[18:19], v[22:23]
	v_fma_f64 v[32:33], v[0:1], s[40:41], v[30:31]
	v_fma_f64 v[30:31], v[0:1], s[20:21], v[30:31]
	v_fma_f64 v[40:41], v[0:1], s[36:37], v[38:39]
	v_fma_f64 v[38:39], v[0:1], s[22:23], v[38:39]
	v_fma_f64 v[44:45], v[0:1], s[42:43], v[226:227]
	v_fma_f64 v[0:1], v[0:1], s[24:25], v[226:227]
	v_add_f64 v[230:231], v[154:155], v[230:231]
	v_add_f64 v[148:149], v[148:149], v[184:185]
	;; [unrolled: 1-line block ×5, first 2 shown]
	v_fma_f64 v[28:29], v[224:225], s[10:11], v[241:242]
	v_fma_f64 v[34:35], v[224:225], s[10:11], -v[241:242]
	v_mul_f64 v[241:242], v[2:3], s[22:23]
	v_add_f64 v[246:247], v[152:153], v[246:247]
	v_add_f64 v[244:245], v[152:153], v[244:245]
	;; [unrolled: 1-line block ×13, first 2 shown]
	v_add_f64 v[154:155], v[220:221], -v[162:163]
	v_add_f64 v[148:149], v[148:149], v[180:181]
	v_add_f64 v[150:151], v[150:151], v[176:177]
	;; [unrolled: 1-line block ×4, first 2 shown]
	v_fma_f64 v[36:37], v[224:225], s[12:13], v[241:242]
	v_fma_f64 v[42:43], v[224:225], s[12:13], -v[241:242]
	v_add_f64 v[148:149], v[148:149], v[178:179]
	v_add_f64 v[150:151], v[150:151], v[172:173]
	s_delay_alu instid0(VALU_DEP_4) | instskip(NEXT) | instid1(VALU_DEP_4)
	v_add_f64 v[36:37], v[152:153], v[36:37]
	v_add_f64 v[42:43], v[152:153], v[42:43]
	s_delay_alu instid0(VALU_DEP_4) | instskip(NEXT) | instid1(VALU_DEP_4)
	v_add_f64 v[148:149], v[148:149], v[174:175]
	v_add_f64 v[150:151], v[150:151], v[168:169]
	s_delay_alu instid0(VALU_DEP_2) | instskip(NEXT) | instid1(VALU_DEP_2)
	v_add_f64 v[148:149], v[148:149], v[170:171]
	v_add_f64 v[150:151], v[150:151], v[164:165]
	s_delay_alu instid0(VALU_DEP_2) | instskip(NEXT) | instid1(VALU_DEP_2)
	;; [unrolled: 3-line block ×3, first 2 shown]
	v_add_f64 v[148:149], v[148:149], v[162:163]
	v_add_f64 v[150:151], v[150:151], v[156:157]
	s_delay_alu instid0(VALU_DEP_2) | instskip(SKIP_2) | instid1(VALU_DEP_4)
	v_add_f64 v[148:149], v[148:149], v[158:159]
	v_mul_f64 v[158:159], v[2:3], s[28:29]
	v_mul_f64 v[2:3], v[2:3], s[24:25]
	v_add_f64 v[150:151], v[150:151], v[222:223]
	s_delay_alu instid0(VALU_DEP_3) | instskip(SKIP_1) | instid1(VALU_DEP_4)
	v_fma_f64 v[222:223], v[224:225], s[26:27], v[158:159]
	v_fma_f64 v[158:159], v[224:225], s[26:27], -v[158:159]
	v_fma_f64 v[241:242], v[224:225], s[14:15], v[2:3]
	v_fma_f64 v[2:3], v[224:225], s[14:15], -v[2:3]
	s_delay_alu instid0(VALU_DEP_4) | instskip(NEXT) | instid1(VALU_DEP_4)
	v_add_f64 v[222:223], v[152:153], v[222:223]
	v_add_f64 v[158:159], v[152:153], v[158:159]
	s_delay_alu instid0(VALU_DEP_4) | instskip(NEXT) | instid1(VALU_DEP_4)
	v_add_f64 v[241:242], v[152:153], v[241:242]
	v_add_f64 v[2:3], v[152:153], v[2:3]
	;; [unrolled: 1-line block ×3, first 2 shown]
	v_add_f64 v[156:157], v[218:219], -v[156:157]
	s_delay_alu instid0(VALU_DEP_2) | instskip(NEXT) | instid1(VALU_DEP_2)
	v_mul_f64 v[220:221], v[152:153], s[0:1]
	v_mul_f64 v[162:163], v[156:157], s[16:17]
	;; [unrolled: 1-line block ×3, first 2 shown]
	s_delay_alu instid0(VALU_DEP_2) | instskip(SKIP_1) | instid1(VALU_DEP_2)
	v_fma_f64 v[218:219], v[46:47], s[0:1], v[162:163]
	v_fma_f64 v[162:163], v[46:47], s[0:1], -v[162:163]
	v_add_f64 v[218:219], v[218:219], v[222:223]
	v_fma_f64 v[222:223], v[154:155], s[38:39], v[220:221]
	s_delay_alu instid0(VALU_DEP_3) | instskip(SKIP_2) | instid1(VALU_DEP_4)
	v_add_f64 v[158:159], v[162:163], v[158:159]
	v_fma_f64 v[162:163], v[154:155], s[16:17], v[220:221]
	v_mul_f64 v[220:221], v[156:157], s[20:21]
	v_add_f64 v[222:223], v[222:223], v[230:231]
	v_mul_f64 v[230:231], v[156:157], s[24:25]
	s_delay_alu instid0(VALU_DEP_4) | instskip(NEXT) | instid1(VALU_DEP_4)
	v_add_f64 v[162:163], v[162:163], v[228:229]
	v_fma_f64 v[224:225], v[46:47], s[10:11], v[220:221]
	v_fma_f64 v[220:221], v[46:47], s[10:11], -v[220:221]
	v_fma_f64 v[228:229], v[154:155], s[40:41], v[226:227]
	v_fma_f64 v[226:227], v[154:155], s[20:21], v[226:227]
	s_delay_alu instid0(VALU_DEP_4) | instskip(NEXT) | instid1(VALU_DEP_4)
	v_add_f64 v[224:225], v[224:225], v[246:247]
	v_add_f64 v[220:221], v[220:221], v[244:245]
	v_fma_f64 v[244:245], v[46:47], s[14:15], v[230:231]
	v_fma_f64 v[230:231], v[46:47], s[14:15], -v[230:231]
	v_add_f64 v[226:227], v[226:227], v[248:249]
	v_add_f64 v[228:229], v[228:229], v[250:251]
	s_delay_alu instid0(VALU_DEP_4) | instskip(SKIP_2) | instid1(VALU_DEP_2)
	v_add_f64 v[20:21], v[244:245], v[20:21]
	v_mul_f64 v[244:245], v[152:153], s[14:15]
	v_add_f64 v[26:27], v[230:231], v[26:27]
	v_fma_f64 v[230:231], v[154:155], s[24:25], v[244:245]
	v_fma_f64 v[246:247], v[154:155], s[42:43], v[244:245]
	s_delay_alu instid0(VALU_DEP_2) | instskip(SKIP_1) | instid1(VALU_DEP_3)
	v_add_f64 v[22:23], v[230:231], v[22:23]
	v_mul_f64 v[230:231], v[156:157], s[36:37]
	v_add_f64 v[24:25], v[246:247], v[24:25]
	s_delay_alu instid0(VALU_DEP_2) | instskip(SKIP_1) | instid1(VALU_DEP_2)
	v_fma_f64 v[244:245], v[46:47], s[12:13], v[230:231]
	v_fma_f64 v[230:231], v[46:47], s[12:13], -v[230:231]
	v_add_f64 v[28:29], v[244:245], v[28:29]
	v_mul_f64 v[244:245], v[152:153], s[12:13]
	s_delay_alu instid0(VALU_DEP_3) | instskip(NEXT) | instid1(VALU_DEP_2)
	v_add_f64 v[34:35], v[230:231], v[34:35]
	v_fma_f64 v[230:231], v[154:155], s[36:37], v[244:245]
	v_fma_f64 v[246:247], v[154:155], s[22:23], v[244:245]
	s_delay_alu instid0(VALU_DEP_2) | instskip(SKIP_2) | instid1(VALU_DEP_4)
	v_add_f64 v[30:31], v[230:231], v[30:31]
	v_mul_f64 v[230:231], v[156:157], s[34:35]
	v_mul_f64 v[156:157], v[156:157], s[30:31]
	v_add_f64 v[32:33], v[246:247], v[32:33]
	s_delay_alu instid0(VALU_DEP_3) | instskip(SKIP_1) | instid1(VALU_DEP_2)
	v_fma_f64 v[244:245], v[46:47], s[8:9], v[230:231]
	v_fma_f64 v[230:231], v[46:47], s[8:9], -v[230:231]
	v_add_f64 v[36:37], v[244:245], v[36:37]
	v_mul_f64 v[244:245], v[152:153], s[8:9]
	s_delay_alu instid0(VALU_DEP_3) | instskip(SKIP_1) | instid1(VALU_DEP_3)
	v_add_f64 v[42:43], v[230:231], v[42:43]
	v_mul_f64 v[152:153], v[152:153], s[26:27]
	v_fma_f64 v[230:231], v[154:155], s[34:35], v[244:245]
	v_fma_f64 v[246:247], v[154:155], s[18:19], v[244:245]
	s_delay_alu instid0(VALU_DEP_2) | instskip(SKIP_4) | instid1(VALU_DEP_4)
	v_add_f64 v[38:39], v[230:231], v[38:39]
	v_fma_f64 v[230:231], v[46:47], s[26:27], v[156:157]
	v_fma_f64 v[46:47], v[46:47], s[26:27], -v[156:157]
	v_add_f64 v[156:157], v[214:215], -v[160:161]
	v_add_f64 v[40:41], v[246:247], v[40:41]
	v_add_f64 v[230:231], v[230:231], v[241:242]
	s_delay_alu instid0(VALU_DEP_4)
	v_add_f64 v[2:3], v[46:47], v[2:3]
	v_fma_f64 v[46:47], v[154:155], s[30:31], v[152:153]
	v_fma_f64 v[241:242], v[154:155], s[28:29], v[152:153]
	v_add_f64 v[152:153], v[214:215], v[160:161]
	v_mul_f64 v[160:161], v[156:157], s[18:19]
	v_add_f64 v[154:155], v[216:217], -v[166:167]
	v_add_f64 v[0:1], v[46:47], v[0:1]
	v_add_f64 v[46:47], v[216:217], v[166:167]
	v_mul_f64 v[214:215], v[152:153], s[8:9]
	v_add_f64 v[44:45], v[241:242], v[44:45]
	s_delay_alu instid0(VALU_DEP_3) | instskip(SKIP_1) | instid1(VALU_DEP_4)
	v_fma_f64 v[166:167], v[46:47], s[8:9], v[160:161]
	v_fma_f64 v[160:161], v[46:47], s[8:9], -v[160:161]
	v_fma_f64 v[216:217], v[154:155], s[34:35], v[214:215]
	s_delay_alu instid0(VALU_DEP_3) | instskip(NEXT) | instid1(VALU_DEP_3)
	v_add_f64 v[166:167], v[166:167], v[218:219]
	v_add_f64 v[158:159], v[160:161], v[158:159]
	v_fma_f64 v[160:161], v[154:155], s[18:19], v[214:215]
	v_mul_f64 v[218:219], v[152:153], s[14:15]
	v_add_f64 v[216:217], v[216:217], v[222:223]
	s_delay_alu instid0(VALU_DEP_3) | instskip(SKIP_1) | instid1(VALU_DEP_4)
	v_add_f64 v[160:161], v[160:161], v[162:163]
	v_mul_f64 v[162:163], v[156:157], s[24:25]
	v_fma_f64 v[222:223], v[154:155], s[42:43], v[218:219]
	v_fma_f64 v[218:219], v[154:155], s[24:25], v[218:219]
	s_delay_alu instid0(VALU_DEP_3) | instskip(SKIP_1) | instid1(VALU_DEP_3)
	v_fma_f64 v[214:215], v[46:47], s[14:15], v[162:163]
	v_fma_f64 v[162:163], v[46:47], s[14:15], -v[162:163]
	v_add_f64 v[218:219], v[218:219], v[226:227]
	v_add_f64 v[222:223], v[222:223], v[228:229]
	s_delay_alu instid0(VALU_DEP_4) | instskip(NEXT) | instid1(VALU_DEP_4)
	v_add_f64 v[214:215], v[214:215], v[224:225]
	v_add_f64 v[162:163], v[162:163], v[220:221]
	v_mul_f64 v[220:221], v[156:157], s[40:41]
	s_delay_alu instid0(VALU_DEP_1) | instskip(SKIP_1) | instid1(VALU_DEP_2)
	v_fma_f64 v[224:225], v[46:47], s[10:11], v[220:221]
	v_fma_f64 v[220:221], v[46:47], s[10:11], -v[220:221]
	v_add_f64 v[20:21], v[224:225], v[20:21]
	v_mul_f64 v[224:225], v[152:153], s[10:11]
	s_delay_alu instid0(VALU_DEP_3) | instskip(NEXT) | instid1(VALU_DEP_2)
	v_add_f64 v[26:27], v[220:221], v[26:27]
	v_fma_f64 v[220:221], v[154:155], s[40:41], v[224:225]
	v_fma_f64 v[226:227], v[154:155], s[20:21], v[224:225]
	s_delay_alu instid0(VALU_DEP_2) | instskip(SKIP_1) | instid1(VALU_DEP_3)
	v_add_f64 v[22:23], v[220:221], v[22:23]
	v_mul_f64 v[220:221], v[156:157], s[30:31]
	v_add_f64 v[24:25], v[226:227], v[24:25]
	s_delay_alu instid0(VALU_DEP_2) | instskip(SKIP_1) | instid1(VALU_DEP_2)
	v_fma_f64 v[224:225], v[46:47], s[26:27], v[220:221]
	v_fma_f64 v[220:221], v[46:47], s[26:27], -v[220:221]
	v_add_f64 v[28:29], v[224:225], v[28:29]
	v_mul_f64 v[224:225], v[152:153], s[26:27]
	s_delay_alu instid0(VALU_DEP_3) | instskip(NEXT) | instid1(VALU_DEP_2)
	v_add_f64 v[34:35], v[220:221], v[34:35]
	v_fma_f64 v[220:221], v[154:155], s[30:31], v[224:225]
	v_fma_f64 v[226:227], v[154:155], s[28:29], v[224:225]
	s_delay_alu instid0(VALU_DEP_2) | instskip(SKIP_2) | instid1(VALU_DEP_4)
	v_add_f64 v[30:31], v[220:221], v[30:31]
	v_mul_f64 v[220:221], v[156:157], s[16:17]
	v_mul_f64 v[156:157], v[156:157], s[22:23]
	v_add_f64 v[32:33], v[226:227], v[32:33]
	s_delay_alu instid0(VALU_DEP_3) | instskip(SKIP_1) | instid1(VALU_DEP_2)
	v_fma_f64 v[224:225], v[46:47], s[0:1], v[220:221]
	v_fma_f64 v[220:221], v[46:47], s[0:1], -v[220:221]
	v_add_f64 v[36:37], v[224:225], v[36:37]
	v_mul_f64 v[224:225], v[152:153], s[0:1]
	s_delay_alu instid0(VALU_DEP_3) | instskip(SKIP_1) | instid1(VALU_DEP_3)
	v_add_f64 v[42:43], v[220:221], v[42:43]
	v_mul_f64 v[152:153], v[152:153], s[12:13]
	v_fma_f64 v[220:221], v[154:155], s[16:17], v[224:225]
	v_fma_f64 v[226:227], v[154:155], s[38:39], v[224:225]
	s_delay_alu instid0(VALU_DEP_3) | instskip(NEXT) | instid1(VALU_DEP_3)
	v_fma_f64 v[224:225], v[154:155], s[36:37], v[152:153]
	v_add_f64 v[38:39], v[220:221], v[38:39]
	v_fma_f64 v[220:221], v[46:47], s[12:13], v[156:157]
	v_fma_f64 v[46:47], v[46:47], s[12:13], -v[156:157]
	v_add_f64 v[156:157], v[186:187], -v[164:165]
	v_add_f64 v[44:45], v[224:225], v[44:45]
	v_add_f64 v[40:41], v[226:227], v[40:41]
	v_add_f64 v[220:221], v[220:221], v[230:231]
	v_add_f64 v[2:3], v[46:47], v[2:3]
	v_fma_f64 v[46:47], v[154:155], s[22:23], v[152:153]
	v_add_f64 v[152:153], v[186:187], v[164:165]
	v_mul_f64 v[164:165], v[156:157], s[20:21]
	v_add_f64 v[154:155], v[212:213], -v[170:171]
	s_delay_alu instid0(VALU_DEP_4) | instskip(SKIP_2) | instid1(VALU_DEP_2)
	v_add_f64 v[0:1], v[46:47], v[0:1]
	v_add_f64 v[46:47], v[212:213], v[170:171]
	v_mul_f64 v[212:213], v[152:153], s[12:13]
	v_fma_f64 v[170:171], v[46:47], s[10:11], v[164:165]
	v_fma_f64 v[164:165], v[46:47], s[10:11], -v[164:165]
	s_delay_alu instid0(VALU_DEP_2) | instskip(SKIP_1) | instid1(VALU_DEP_3)
	v_add_f64 v[166:167], v[170:171], v[166:167]
	v_mul_f64 v[170:171], v[152:153], s[10:11]
	v_add_f64 v[158:159], v[164:165], v[158:159]
	s_delay_alu instid0(VALU_DEP_2) | instskip(SKIP_1) | instid1(VALU_DEP_2)
	v_fma_f64 v[164:165], v[154:155], s[20:21], v[170:171]
	v_fma_f64 v[186:187], v[154:155], s[40:41], v[170:171]
	v_add_f64 v[160:161], v[164:165], v[160:161]
	v_mul_f64 v[164:165], v[156:157], s[36:37]
	s_delay_alu instid0(VALU_DEP_3) | instskip(NEXT) | instid1(VALU_DEP_2)
	v_add_f64 v[186:187], v[186:187], v[216:217]
	v_fma_f64 v[170:171], v[46:47], s[12:13], v[164:165]
	v_fma_f64 v[164:165], v[46:47], s[12:13], -v[164:165]
	s_delay_alu instid0(VALU_DEP_2) | instskip(SKIP_1) | instid1(VALU_DEP_3)
	v_add_f64 v[170:171], v[170:171], v[214:215]
	v_fma_f64 v[214:215], v[154:155], s[22:23], v[212:213]
	v_add_f64 v[162:163], v[164:165], v[162:163]
	v_fma_f64 v[164:165], v[154:155], s[36:37], v[212:213]
	v_mul_f64 v[212:213], v[156:157], s[30:31]
	s_delay_alu instid0(VALU_DEP_4) | instskip(NEXT) | instid1(VALU_DEP_3)
	v_add_f64 v[214:215], v[214:215], v[222:223]
	v_add_f64 v[164:165], v[164:165], v[218:219]
	s_delay_alu instid0(VALU_DEP_3) | instskip(SKIP_1) | instid1(VALU_DEP_2)
	v_fma_f64 v[216:217], v[46:47], s[26:27], v[212:213]
	v_fma_f64 v[212:213], v[46:47], s[26:27], -v[212:213]
	v_add_f64 v[20:21], v[216:217], v[20:21]
	v_mul_f64 v[216:217], v[152:153], s[26:27]
	s_delay_alu instid0(VALU_DEP_3) | instskip(NEXT) | instid1(VALU_DEP_2)
	v_add_f64 v[26:27], v[212:213], v[26:27]
	v_fma_f64 v[212:213], v[154:155], s[30:31], v[216:217]
	v_fma_f64 v[218:219], v[154:155], s[28:29], v[216:217]
	s_delay_alu instid0(VALU_DEP_2) | instskip(SKIP_1) | instid1(VALU_DEP_3)
	v_add_f64 v[22:23], v[212:213], v[22:23]
	v_mul_f64 v[212:213], v[156:157], s[18:19]
	v_add_f64 v[24:25], v[218:219], v[24:25]
	s_delay_alu instid0(VALU_DEP_2) | instskip(SKIP_1) | instid1(VALU_DEP_2)
	v_fma_f64 v[216:217], v[46:47], s[8:9], v[212:213]
	v_fma_f64 v[212:213], v[46:47], s[8:9], -v[212:213]
	v_add_f64 v[28:29], v[216:217], v[28:29]
	v_mul_f64 v[216:217], v[152:153], s[8:9]
	s_delay_alu instid0(VALU_DEP_3) | instskip(NEXT) | instid1(VALU_DEP_2)
	v_add_f64 v[34:35], v[212:213], v[34:35]
	v_fma_f64 v[212:213], v[154:155], s[18:19], v[216:217]
	v_fma_f64 v[218:219], v[154:155], s[34:35], v[216:217]
	s_delay_alu instid0(VALU_DEP_2) | instskip(SKIP_2) | instid1(VALU_DEP_4)
	v_add_f64 v[30:31], v[212:213], v[30:31]
	v_mul_f64 v[212:213], v[156:157], s[42:43]
	v_mul_f64 v[156:157], v[156:157], s[38:39]
	v_add_f64 v[32:33], v[218:219], v[32:33]
	s_delay_alu instid0(VALU_DEP_3) | instskip(SKIP_1) | instid1(VALU_DEP_2)
	v_fma_f64 v[216:217], v[46:47], s[14:15], v[212:213]
	v_fma_f64 v[212:213], v[46:47], s[14:15], -v[212:213]
	v_add_f64 v[36:37], v[216:217], v[36:37]
	v_mul_f64 v[216:217], v[152:153], s[14:15]
	s_delay_alu instid0(VALU_DEP_3) | instskip(SKIP_1) | instid1(VALU_DEP_3)
	v_add_f64 v[42:43], v[212:213], v[42:43]
	v_mul_f64 v[152:153], v[152:153], s[0:1]
	v_fma_f64 v[212:213], v[154:155], s[42:43], v[216:217]
	v_fma_f64 v[218:219], v[154:155], s[24:25], v[216:217]
	s_delay_alu instid0(VALU_DEP_3) | instskip(NEXT) | instid1(VALU_DEP_3)
	v_fma_f64 v[216:217], v[154:155], s[16:17], v[152:153]
	v_add_f64 v[38:39], v[212:213], v[38:39]
	v_fma_f64 v[212:213], v[46:47], s[0:1], v[156:157]
	v_fma_f64 v[46:47], v[46:47], s[0:1], -v[156:157]
	v_add_f64 v[156:157], v[182:183], -v[168:169]
	v_add_f64 v[44:45], v[216:217], v[44:45]
	v_add_f64 v[40:41], v[218:219], v[40:41]
	;; [unrolled: 1-line block ×4, first 2 shown]
	v_fma_f64 v[46:47], v[154:155], s[38:39], v[152:153]
	v_add_f64 v[152:153], v[182:183], v[168:169]
	v_mul_f64 v[168:169], v[156:157], s[22:23]
	v_add_f64 v[154:155], v[184:185], -v[174:175]
	s_delay_alu instid0(VALU_DEP_4) | instskip(SKIP_1) | instid1(VALU_DEP_1)
	v_add_f64 v[0:1], v[46:47], v[0:1]
	v_add_f64 v[46:47], v[184:185], v[174:175]
	v_fma_f64 v[174:175], v[46:47], s[12:13], v[168:169]
	v_fma_f64 v[168:169], v[46:47], s[12:13], -v[168:169]
	s_delay_alu instid0(VALU_DEP_2) | instskip(SKIP_1) | instid1(VALU_DEP_3)
	v_add_f64 v[166:167], v[174:175], v[166:167]
	v_mul_f64 v[174:175], v[152:153], s[12:13]
	v_add_f64 v[216:217], v[168:169], v[158:159]
	s_delay_alu instid0(VALU_DEP_2) | instskip(SKIP_2) | instid1(VALU_DEP_3)
	v_fma_f64 v[158:159], v[154:155], s[22:23], v[174:175]
	v_fma_f64 v[182:183], v[154:155], s[36:37], v[174:175]
	v_add_f64 v[174:175], v[180:181], -v[178:179]
	v_add_f64 v[160:161], v[158:159], v[160:161]
	v_mul_f64 v[158:159], v[156:157], s[34:35]
	s_delay_alu instid0(VALU_DEP_4) | instskip(SKIP_1) | instid1(VALU_DEP_3)
	v_add_f64 v[186:187], v[182:183], v[186:187]
	v_add_f64 v[182:183], v[180:181], v[178:179]
	v_fma_f64 v[168:169], v[46:47], s[8:9], v[158:159]
	v_fma_f64 v[158:159], v[46:47], s[8:9], -v[158:159]
	s_delay_alu instid0(VALU_DEP_2) | instskip(SKIP_1) | instid1(VALU_DEP_3)
	v_add_f64 v[218:219], v[168:169], v[170:171]
	v_mul_f64 v[168:169], v[152:153], s[8:9]
	v_add_f64 v[162:163], v[158:159], v[162:163]
	s_delay_alu instid0(VALU_DEP_2) | instskip(SKIP_1) | instid1(VALU_DEP_2)
	v_fma_f64 v[158:159], v[154:155], s[34:35], v[168:169]
	v_fma_f64 v[170:171], v[154:155], s[18:19], v[168:169]
	v_add_f64 v[220:221], v[158:159], v[164:165]
	v_mul_f64 v[158:159], v[156:157], s[16:17]
	s_delay_alu instid0(VALU_DEP_3) | instskip(NEXT) | instid1(VALU_DEP_2)
	v_add_f64 v[214:215], v[170:171], v[214:215]
	v_fma_f64 v[164:165], v[46:47], s[0:1], v[158:159]
	v_fma_f64 v[158:159], v[46:47], s[0:1], -v[158:159]
	s_delay_alu instid0(VALU_DEP_2) | instskip(SKIP_1) | instid1(VALU_DEP_3)
	v_add_f64 v[20:21], v[164:165], v[20:21]
	v_mul_f64 v[164:165], v[152:153], s[0:1]
	v_add_f64 v[26:27], v[158:159], v[26:27]
	s_delay_alu instid0(VALU_DEP_2) | instskip(SKIP_1) | instid1(VALU_DEP_2)
	v_fma_f64 v[158:159], v[154:155], s[16:17], v[164:165]
	v_fma_f64 v[168:169], v[154:155], s[38:39], v[164:165]
	v_add_f64 v[22:23], v[158:159], v[22:23]
	v_mul_f64 v[158:159], v[156:157], s[42:43]
	s_delay_alu instid0(VALU_DEP_3) | instskip(NEXT) | instid1(VALU_DEP_2)
	v_add_f64 v[24:25], v[168:169], v[24:25]
	v_fma_f64 v[164:165], v[46:47], s[14:15], v[158:159]
	v_fma_f64 v[158:159], v[46:47], s[14:15], -v[158:159]
	s_delay_alu instid0(VALU_DEP_2) | instskip(SKIP_1) | instid1(VALU_DEP_3)
	v_add_f64 v[28:29], v[164:165], v[28:29]
	v_mul_f64 v[164:165], v[152:153], s[14:15]
	v_add_f64 v[34:35], v[158:159], v[34:35]
	s_delay_alu instid0(VALU_DEP_2) | instskip(SKIP_1) | instid1(VALU_DEP_2)
	v_fma_f64 v[158:159], v[154:155], s[42:43], v[164:165]
	v_fma_f64 v[168:169], v[154:155], s[24:25], v[164:165]
	v_add_f64 v[30:31], v[158:159], v[30:31]
	v_mul_f64 v[158:159], v[156:157], s[30:31]
	v_mul_f64 v[156:157], v[156:157], s[20:21]
	s_delay_alu instid0(VALU_DEP_4) | instskip(NEXT) | instid1(VALU_DEP_3)
	v_add_f64 v[32:33], v[168:169], v[32:33]
	v_fma_f64 v[164:165], v[46:47], s[26:27], v[158:159]
	v_fma_f64 v[158:159], v[46:47], s[26:27], -v[158:159]
	s_delay_alu instid0(VALU_DEP_2) | instskip(SKIP_1) | instid1(VALU_DEP_3)
	v_add_f64 v[36:37], v[164:165], v[36:37]
	v_mul_f64 v[164:165], v[152:153], s[26:27]
	v_add_f64 v[42:43], v[158:159], v[42:43]
	v_mul_f64 v[152:153], v[152:153], s[10:11]
	s_delay_alu instid0(VALU_DEP_3) | instskip(SKIP_1) | instid1(VALU_DEP_2)
	v_fma_f64 v[158:159], v[154:155], s[30:31], v[164:165]
	v_fma_f64 v[168:169], v[154:155], s[28:29], v[164:165]
	v_add_f64 v[38:39], v[158:159], v[38:39]
	v_fma_f64 v[158:159], v[46:47], s[10:11], v[156:157]
	s_delay_alu instid0(VALU_DEP_3) | instskip(NEXT) | instid1(VALU_DEP_2)
	v_add_f64 v[40:41], v[168:169], v[40:41]
	v_add_f64 v[228:229], v[158:159], v[212:213]
	v_fma_f64 v[158:159], v[154:155], s[40:41], v[152:153]
	s_delay_alu instid0(VALU_DEP_1) | instskip(SKIP_2) | instid1(VALU_DEP_2)
	v_add_f64 v[184:185], v[158:159], v[44:45]
	v_fma_f64 v[44:45], v[46:47], s[10:11], -v[156:157]
	v_add_f64 v[46:47], v[176:177], -v[172:173]
	v_add_f64 v[170:171], v[44:45], v[2:3]
	v_fma_f64 v[2:3], v[154:155], s[20:21], v[152:153]
	v_add_f64 v[44:45], v[176:177], v[172:173]
	s_delay_alu instid0(VALU_DEP_4) | instskip(NEXT) | instid1(VALU_DEP_3)
	v_mul_f64 v[172:173], v[46:47], s[22:23]
	v_add_f64 v[168:169], v[2:3], v[0:1]
	v_mul_f64 v[0:1], v[46:47], s[24:25]
	s_delay_alu instid0(VALU_DEP_1) | instskip(SKIP_1) | instid1(VALU_DEP_2)
	v_fma_f64 v[2:3], v[182:183], s[14:15], v[0:1]
	v_fma_f64 v[0:1], v[182:183], s[14:15], -v[0:1]
	v_add_f64 v[156:157], v[2:3], v[166:167]
	v_mul_f64 v[2:3], v[44:45], s[14:15]
	s_delay_alu instid0(VALU_DEP_1) | instskip(NEXT) | instid1(VALU_DEP_1)
	v_fma_f64 v[152:153], v[174:175], s[42:43], v[2:3]
	v_add_f64 v[158:159], v[152:153], v[186:187]
	v_add_f64 v[152:153], v[0:1], v[216:217]
	v_fma_f64 v[0:1], v[174:175], s[24:25], v[2:3]
	s_delay_alu instid0(VALU_DEP_1) | instskip(SKIP_1) | instid1(VALU_DEP_1)
	v_add_f64 v[154:155], v[0:1], v[160:161]
	v_mul_f64 v[0:1], v[46:47], s[30:31]
	v_fma_f64 v[2:3], v[182:183], s[26:27], v[0:1]
	v_fma_f64 v[0:1], v[182:183], s[26:27], -v[0:1]
	s_delay_alu instid0(VALU_DEP_2) | instskip(SKIP_1) | instid1(VALU_DEP_1)
	v_add_f64 v[164:165], v[2:3], v[218:219]
	v_mul_f64 v[2:3], v[44:45], s[26:27]
	v_fma_f64 v[160:161], v[174:175], s[28:29], v[2:3]
	s_delay_alu instid0(VALU_DEP_1) | instskip(SKIP_2) | instid1(VALU_DEP_1)
	v_add_f64 v[166:167], v[160:161], v[214:215]
	v_add_f64 v[160:161], v[0:1], v[162:163]
	v_fma_f64 v[0:1], v[174:175], s[30:31], v[2:3]
	v_add_f64 v[162:163], v[0:1], v[220:221]
	v_fma_f64 v[0:1], v[182:183], s[12:13], v[172:173]
	s_delay_alu instid0(VALU_DEP_1) | instskip(SKIP_1) | instid1(VALU_DEP_1)
	v_add_f64 v[0:1], v[0:1], v[20:21]
	v_mul_f64 v[20:21], v[44:45], s[12:13]
	v_fma_f64 v[2:3], v[174:175], s[36:37], v[20:21]
	v_fma_f64 v[20:21], v[174:175], s[22:23], v[20:21]
	s_delay_alu instid0(VALU_DEP_2) | instskip(NEXT) | instid1(VALU_DEP_2)
	v_add_f64 v[2:3], v[2:3], v[24:25]
	v_add_f64 v[178:179], v[20:21], v[22:23]
	v_mul_f64 v[20:21], v[46:47], s[38:39]
	v_fma_f64 v[24:25], v[182:183], s[12:13], -v[172:173]
	s_delay_alu instid0(VALU_DEP_2) | instskip(SKIP_1) | instid1(VALU_DEP_3)
	v_fma_f64 v[22:23], v[182:183], s[0:1], v[20:21]
	v_fma_f64 v[20:21], v[182:183], s[0:1], -v[20:21]
	v_add_f64 v[176:177], v[24:25], v[26:27]
	s_delay_alu instid0(VALU_DEP_3) | instskip(SKIP_1) | instid1(VALU_DEP_4)
	v_add_f64 v[212:213], v[22:23], v[28:29]
	v_mul_f64 v[22:23], v[44:45], s[0:1]
	v_add_f64 v[216:217], v[20:21], v[34:35]
	s_delay_alu instid0(VALU_DEP_2) | instskip(SKIP_1) | instid1(VALU_DEP_2)
	v_fma_f64 v[20:21], v[174:175], s[38:39], v[22:23]
	v_fma_f64 v[24:25], v[174:175], s[16:17], v[22:23]
	v_add_f64 v[218:219], v[20:21], v[30:31]
	v_mul_f64 v[20:21], v[46:47], s[20:21]
	s_delay_alu instid0(VALU_DEP_3) | instskip(NEXT) | instid1(VALU_DEP_2)
	v_add_f64 v[214:215], v[24:25], v[32:33]
	v_fma_f64 v[22:23], v[182:183], s[10:11], v[20:21]
	v_fma_f64 v[20:21], v[182:183], s[10:11], -v[20:21]
	s_delay_alu instid0(VALU_DEP_2) | instskip(SKIP_1) | instid1(VALU_DEP_3)
	v_add_f64 v[220:221], v[22:23], v[36:37]
	v_mul_f64 v[22:23], v[44:45], s[10:11]
	v_add_f64 v[224:225], v[20:21], v[42:43]
	s_delay_alu instid0(VALU_DEP_2) | instskip(SKIP_1) | instid1(VALU_DEP_2)
	v_fma_f64 v[20:21], v[174:175], s[20:21], v[22:23]
	v_fma_f64 v[24:25], v[174:175], s[40:41], v[22:23]
	v_add_f64 v[226:227], v[20:21], v[38:39]
	v_mul_f64 v[20:21], v[46:47], s[34:35]
	s_delay_alu instid0(VALU_DEP_3) | instskip(NEXT) | instid1(VALU_DEP_2)
	v_add_f64 v[222:223], v[24:25], v[40:41]
	v_fma_f64 v[22:23], v[182:183], s[8:9], v[20:21]
	v_fma_f64 v[20:21], v[182:183], s[8:9], -v[20:21]
	s_delay_alu instid0(VALU_DEP_2) | instskip(SKIP_1) | instid1(VALU_DEP_3)
	v_add_f64 v[228:229], v[22:23], v[228:229]
	v_mul_f64 v[22:23], v[44:45], s[8:9]
	v_add_f64 v[170:171], v[20:21], v[170:171]
	s_delay_alu instid0(VALU_DEP_2) | instskip(SKIP_1) | instid1(VALU_DEP_2)
	v_fma_f64 v[24:25], v[174:175], s[18:19], v[22:23]
	v_fma_f64 v[20:21], v[174:175], s[34:35], v[22:23]
	v_add_f64 v[230:231], v[24:25], v[184:185]
	s_delay_alu instid0(VALU_DEP_2)
	v_add_f64 v[172:173], v[20:21], v[168:169]
	ds_store_b128 v243, v[148:151]
	ds_store_b128 v243, v[156:159] offset:64
	ds_store_b128 v243, v[164:167] offset:128
	;; [unrolled: 1-line block ×12, first 2 shown]
	s_and_saveexec_b32 s33, vcc_lo
	s_cbranch_execz .LBB0_9
; %bb.8:
	v_mul_f64 v[0:1], v[142:143], v[190:191]
	scratch_load_b128 v[20:23], off, off offset:24 ; 16-byte Folded Reload
	v_fma_f64 v[148:149], v[140:141], v[188:189], v[0:1]
	v_mul_f64 v[0:1], v[142:143], v[188:189]
	s_delay_alu instid0(VALU_DEP_1) | instskip(SKIP_1) | instid1(VALU_DEP_1)
	v_fma_f64 v[154:155], v[140:141], v[190:191], -v[0:1]
	v_mul_f64 v[0:1], v[138:139], v[198:199]
	v_fma_f64 v[140:141], v[136:137], v[196:197], v[0:1]
	v_mul_f64 v[0:1], v[138:139], v[196:197]
	s_delay_alu instid0(VALU_DEP_2) | instskip(NEXT) | instid1(VALU_DEP_2)
	v_add_f64 v[190:191], v[148:149], -v[140:141]
	v_fma_f64 v[152:153], v[136:137], v[198:199], -v[0:1]
	v_mul_f64 v[0:1], v[130:131], v[82:83]
	v_add_f64 v[150:151], v[148:149], v[140:141]
	s_delay_alu instid0(VALU_DEP_3) | instskip(NEXT) | instid1(VALU_DEP_3)
	v_add_f64 v[142:143], v[154:155], v[152:153]
	v_fma_f64 v[156:157], v[128:129], v[80:81], v[0:1]
	v_mul_f64 v[0:1], v[130:131], v[80:81]
	v_add_f64 v[196:197], v[154:155], -v[152:153]
	s_delay_alu instid0(VALU_DEP_2) | instskip(SKIP_1) | instid1(VALU_DEP_3)
	v_fma_f64 v[158:159], v[128:129], v[82:83], -v[0:1]
	v_mul_f64 v[0:1], v[134:135], v[94:95]
	v_mul_f64 v[44:45], v[196:197], s[24:25]
	s_delay_alu instid0(VALU_DEP_2) | instskip(SKIP_1) | instid1(VALU_DEP_2)
	v_fma_f64 v[128:129], v[132:133], v[92:93], v[0:1]
	v_mul_f64 v[0:1], v[134:135], v[92:93]
	v_add_f64 v[198:199], v[156:157], -v[128:129]
	s_delay_alu instid0(VALU_DEP_2) | instskip(SKIP_2) | instid1(VALU_DEP_3)
	v_fma_f64 v[136:137], v[132:133], v[94:95], -v[0:1]
	v_mul_f64 v[0:1], v[122:123], v[78:79]
	v_add_f64 v[138:139], v[156:157], v[128:129]
	v_add_f64 v[134:135], v[158:159], v[136:137]
	s_delay_alu instid0(VALU_DEP_3) | instskip(SKIP_2) | instid1(VALU_DEP_2)
	v_fma_f64 v[160:161], v[120:121], v[76:77], v[0:1]
	v_mul_f64 v[0:1], v[122:123], v[76:77]
	v_add_f64 v[188:189], v[158:159], -v[136:137]
	v_fma_f64 v[162:163], v[120:121], v[78:79], -v[0:1]
	v_mul_f64 v[0:1], v[126:127], v[90:91]
	s_delay_alu instid0(VALU_DEP_1) | instskip(SKIP_1) | instid1(VALU_DEP_2)
	v_fma_f64 v[120:121], v[124:125], v[88:89], v[0:1]
	v_mul_f64 v[0:1], v[126:127], v[88:89]
	v_add_f64 v[186:187], v[160:161], -v[120:121]
	s_delay_alu instid0(VALU_DEP_2) | instskip(SKIP_2) | instid1(VALU_DEP_3)
	v_fma_f64 v[122:123], v[124:125], v[90:91], -v[0:1]
	v_mul_f64 v[0:1], v[114:115], v[74:75]
	v_add_f64 v[132:133], v[160:161], v[120:121]
	v_add_f64 v[130:131], v[162:163], v[122:123]
	s_delay_alu instid0(VALU_DEP_3) | instskip(SKIP_2) | instid1(VALU_DEP_2)
	v_fma_f64 v[164:165], v[112:113], v[72:73], v[0:1]
	v_mul_f64 v[0:1], v[114:115], v[72:73]
	v_add_f64 v[184:185], v[162:163], -v[122:123]
	v_fma_f64 v[166:167], v[112:113], v[74:75], -v[0:1]
	v_mul_f64 v[0:1], v[118:119], v[86:87]
	s_delay_alu instid0(VALU_DEP_1) | instskip(SKIP_1) | instid1(VALU_DEP_2)
	v_fma_f64 v[112:113], v[116:117], v[84:85], v[0:1]
	v_mul_f64 v[0:1], v[118:119], v[84:85]
	v_add_f64 v[182:183], v[164:165], -v[112:113]
	s_delay_alu instid0(VALU_DEP_2) | instskip(SKIP_2) | instid1(VALU_DEP_3)
	v_fma_f64 v[114:115], v[116:117], v[86:87], -v[0:1]
	v_mul_f64 v[0:1], v[106:107], v[70:71]
	v_add_f64 v[126:127], v[164:165], v[112:113]
	v_add_f64 v[124:125], v[166:167], v[114:115]
	s_delay_alu instid0(VALU_DEP_3) | instskip(SKIP_2) | instid1(VALU_DEP_2)
	v_fma_f64 v[168:169], v[104:105], v[68:69], v[0:1]
	v_mul_f64 v[0:1], v[106:107], v[68:69]
	v_add_f64 v[180:181], v[166:167], -v[114:115]
	v_fma_f64 v[170:171], v[104:105], v[70:71], -v[0:1]
	s_waitcnt vmcnt(0)
	v_mul_f64 v[0:1], v[110:111], v[22:23]
	s_delay_alu instid0(VALU_DEP_1) | instskip(SKIP_1) | instid1(VALU_DEP_2)
	v_fma_f64 v[104:105], v[108:109], v[20:21], v[0:1]
	v_mul_f64 v[0:1], v[110:111], v[20:21]
	v_add_f64 v[176:177], v[168:169], -v[104:105]
	s_delay_alu instid0(VALU_DEP_2)
	v_fma_f64 v[108:109], v[108:109], v[22:23], -v[0:1]
	scratch_load_b128 v[20:23], off, off offset:8 ; 16-byte Folded Reload
	v_mul_f64 v[0:1], v[98:99], v[66:67]
	v_add_f64 v[118:119], v[168:169], v[104:105]
	v_add_f64 v[110:111], v[170:171], v[108:109]
	v_add_f64 v[178:179], v[170:171], -v[108:109]
	s_delay_alu instid0(VALU_DEP_4) | instskip(SKIP_1) | instid1(VALU_DEP_3)
	v_fma_f64 v[172:173], v[96:97], v[64:65], v[0:1]
	v_mul_f64 v[0:1], v[98:99], v[64:65]
	v_mul_f64 v[26:27], v[178:179], s[30:31]
	s_delay_alu instid0(VALU_DEP_2) | instskip(NEXT) | instid1(VALU_DEP_2)
	v_fma_f64 v[174:175], v[96:97], v[66:67], -v[0:1]
	v_fma_f64 v[28:29], v[118:119], s[26:27], -v[26:27]
	s_waitcnt vmcnt(0)
	v_mul_f64 v[0:1], v[102:103], v[22:23]
	s_delay_alu instid0(VALU_DEP_1) | instskip(SKIP_2) | instid1(VALU_DEP_3)
	v_fma_f64 v[106:107], v[100:101], v[20:21], v[0:1]
	v_mul_f64 v[0:1], v[102:103], v[20:21]
	v_mul_f64 v[20:21], v[176:177], s[30:31]
	v_add_f64 v[216:217], v[172:173], -v[106:107]
	s_delay_alu instid0(VALU_DEP_3) | instskip(NEXT) | instid1(VALU_DEP_3)
	v_fma_f64 v[116:117], v[100:101], v[22:23], -v[0:1]
	v_fma_f64 v[22:23], v[110:111], s[26:27], v[20:21]
	v_add_f64 v[214:215], v[172:173], v[106:107]
	v_fma_f64 v[20:21], v[110:111], s[26:27], -v[20:21]
	v_mul_f64 v[0:1], v[216:217], s[24:25]
	v_add_f64 v[212:213], v[174:175], v[116:117]
	v_add_f64 v[218:219], v[174:175], -v[116:117]
	s_delay_alu instid0(VALU_DEP_2) | instskip(SKIP_1) | instid1(VALU_DEP_2)
	v_fma_f64 v[2:3], v[212:213], s[14:15], v[0:1]
	v_fma_f64 v[0:1], v[212:213], s[14:15], -v[0:1]
	v_add_f64 v[2:3], v[234:235], v[2:3]
	s_delay_alu instid0(VALU_DEP_2) | instskip(NEXT) | instid1(VALU_DEP_2)
	v_add_f64 v[0:1], v[234:235], v[0:1]
	v_add_f64 v[2:3], v[22:23], v[2:3]
	v_mul_f64 v[22:23], v[218:219], s[24:25]
	s_delay_alu instid0(VALU_DEP_3) | instskip(NEXT) | instid1(VALU_DEP_2)
	v_add_f64 v[0:1], v[20:21], v[0:1]
	v_fma_f64 v[24:25], v[214:215], s[14:15], -v[22:23]
	v_fma_f64 v[20:21], v[214:215], s[14:15], v[22:23]
	v_fma_f64 v[22:23], v[118:119], s[26:27], v[26:27]
	v_mul_f64 v[26:27], v[178:179], s[34:35]
	s_delay_alu instid0(VALU_DEP_4) | instskip(NEXT) | instid1(VALU_DEP_4)
	v_add_f64 v[24:25], v[232:233], v[24:25]
	v_add_f64 v[20:21], v[232:233], v[20:21]
	s_delay_alu instid0(VALU_DEP_2) | instskip(SKIP_1) | instid1(VALU_DEP_3)
	v_add_f64 v[24:25], v[28:29], v[24:25]
	v_mul_f64 v[28:29], v[182:183], s[22:23]
	v_add_f64 v[20:21], v[22:23], v[20:21]
	s_delay_alu instid0(VALU_DEP_2) | instskip(SKIP_2) | instid1(VALU_DEP_3)
	v_fma_f64 v[30:31], v[124:125], s[12:13], v[28:29]
	v_fma_f64 v[22:23], v[124:125], s[12:13], -v[28:29]
	v_fma_f64 v[28:29], v[118:119], s[8:9], -v[26:27]
	v_add_f64 v[2:3], v[30:31], v[2:3]
	v_mul_f64 v[30:31], v[180:181], s[22:23]
	s_delay_alu instid0(VALU_DEP_4) | instskip(NEXT) | instid1(VALU_DEP_2)
	v_add_f64 v[0:1], v[22:23], v[0:1]
	v_fma_f64 v[32:33], v[126:127], s[12:13], -v[30:31]
	v_fma_f64 v[22:23], v[126:127], s[12:13], v[30:31]
	s_delay_alu instid0(VALU_DEP_2) | instskip(SKIP_1) | instid1(VALU_DEP_3)
	v_add_f64 v[24:25], v[32:33], v[24:25]
	v_mul_f64 v[32:33], v[186:187], s[38:39]
	v_add_f64 v[20:21], v[22:23], v[20:21]
	s_delay_alu instid0(VALU_DEP_2) | instskip(SKIP_1) | instid1(VALU_DEP_2)
	v_fma_f64 v[34:35], v[130:131], s[0:1], v[32:33]
	v_fma_f64 v[22:23], v[130:131], s[0:1], -v[32:33]
	v_add_f64 v[2:3], v[34:35], v[2:3]
	v_mul_f64 v[34:35], v[184:185], s[38:39]
	s_delay_alu instid0(VALU_DEP_3) | instskip(NEXT) | instid1(VALU_DEP_2)
	v_add_f64 v[0:1], v[22:23], v[0:1]
	v_fma_f64 v[36:37], v[132:133], s[0:1], -v[34:35]
	v_fma_f64 v[22:23], v[132:133], s[0:1], v[34:35]
	s_delay_alu instid0(VALU_DEP_2) | instskip(SKIP_1) | instid1(VALU_DEP_3)
	v_add_f64 v[24:25], v[36:37], v[24:25]
	v_mul_f64 v[36:37], v[198:199], s[20:21]
	v_add_f64 v[20:21], v[22:23], v[20:21]
	s_delay_alu instid0(VALU_DEP_2) | instskip(SKIP_1) | instid1(VALU_DEP_2)
	v_fma_f64 v[38:39], v[134:135], s[10:11], v[36:37]
	v_fma_f64 v[22:23], v[134:135], s[10:11], -v[36:37]
	v_add_f64 v[2:3], v[38:39], v[2:3]
	v_mul_f64 v[38:39], v[188:189], s[20:21]
	s_delay_alu instid0(VALU_DEP_3) | instskip(NEXT) | instid1(VALU_DEP_2)
	v_add_f64 v[0:1], v[22:23], v[0:1]
	v_fma_f64 v[40:41], v[138:139], s[10:11], -v[38:39]
	v_fma_f64 v[22:23], v[138:139], s[10:11], v[38:39]
	s_delay_alu instid0(VALU_DEP_2) | instskip(SKIP_1) | instid1(VALU_DEP_3)
	v_add_f64 v[24:25], v[40:41], v[24:25]
	v_mul_f64 v[40:41], v[190:191], s[34:35]
	v_add_f64 v[20:21], v[22:23], v[20:21]
	s_delay_alu instid0(VALU_DEP_2) | instskip(SKIP_1) | instid1(VALU_DEP_2)
	v_fma_f64 v[42:43], v[142:143], s[8:9], v[40:41]
	v_fma_f64 v[22:23], v[142:143], s[8:9], -v[40:41]
	v_add_f64 v[66:67], v[42:43], v[2:3]
	v_mul_f64 v[2:3], v[196:197], s[34:35]
	s_delay_alu instid0(VALU_DEP_3) | instskip(SKIP_1) | instid1(VALU_DEP_3)
	v_add_f64 v[70:71], v[22:23], v[0:1]
	v_mul_f64 v[0:1], v[216:217], s[22:23]
	v_fma_f64 v[42:43], v[150:151], s[8:9], -v[2:3]
	v_fma_f64 v[2:3], v[150:151], s[8:9], v[2:3]
	s_delay_alu instid0(VALU_DEP_2) | instskip(NEXT) | instid1(VALU_DEP_2)
	v_add_f64 v[64:65], v[42:43], v[24:25]
	v_add_f64 v[68:69], v[2:3], v[20:21]
	v_fma_f64 v[2:3], v[212:213], s[12:13], v[0:1]
	v_mul_f64 v[20:21], v[176:177], s[34:35]
	v_fma_f64 v[0:1], v[212:213], s[12:13], -v[0:1]
	s_delay_alu instid0(VALU_DEP_3) | instskip(NEXT) | instid1(VALU_DEP_3)
	v_add_f64 v[2:3], v[234:235], v[2:3]
	v_fma_f64 v[22:23], v[110:111], s[8:9], v[20:21]
	v_fma_f64 v[20:21], v[110:111], s[8:9], -v[20:21]
	s_delay_alu instid0(VALU_DEP_4) | instskip(NEXT) | instid1(VALU_DEP_3)
	v_add_f64 v[0:1], v[234:235], v[0:1]
	v_add_f64 v[2:3], v[22:23], v[2:3]
	v_mul_f64 v[22:23], v[218:219], s[22:23]
	s_delay_alu instid0(VALU_DEP_3) | instskip(NEXT) | instid1(VALU_DEP_2)
	v_add_f64 v[0:1], v[20:21], v[0:1]
	v_fma_f64 v[24:25], v[214:215], s[12:13], -v[22:23]
	v_fma_f64 v[20:21], v[214:215], s[12:13], v[22:23]
	v_fma_f64 v[22:23], v[118:119], s[8:9], v[26:27]
	v_mul_f64 v[26:27], v[178:179], s[36:37]
	s_delay_alu instid0(VALU_DEP_4) | instskip(NEXT) | instid1(VALU_DEP_4)
	v_add_f64 v[24:25], v[232:233], v[24:25]
	v_add_f64 v[20:21], v[232:233], v[20:21]
	s_delay_alu instid0(VALU_DEP_2) | instskip(SKIP_1) | instid1(VALU_DEP_3)
	v_add_f64 v[24:25], v[28:29], v[24:25]
	v_mul_f64 v[28:29], v[182:183], s[16:17]
	v_add_f64 v[20:21], v[22:23], v[20:21]
	s_delay_alu instid0(VALU_DEP_2) | instskip(SKIP_2) | instid1(VALU_DEP_3)
	v_fma_f64 v[30:31], v[124:125], s[0:1], v[28:29]
	v_fma_f64 v[22:23], v[124:125], s[0:1], -v[28:29]
	v_fma_f64 v[28:29], v[118:119], s[12:13], -v[26:27]
	v_add_f64 v[2:3], v[30:31], v[2:3]
	v_mul_f64 v[30:31], v[180:181], s[16:17]
	s_delay_alu instid0(VALU_DEP_4) | instskip(NEXT) | instid1(VALU_DEP_2)
	v_add_f64 v[0:1], v[22:23], v[0:1]
	v_fma_f64 v[32:33], v[126:127], s[0:1], -v[30:31]
	v_fma_f64 v[22:23], v[126:127], s[0:1], v[30:31]
	s_delay_alu instid0(VALU_DEP_2) | instskip(SKIP_1) | instid1(VALU_DEP_3)
	v_add_f64 v[24:25], v[32:33], v[24:25]
	v_mul_f64 v[32:33], v[186:187], s[42:43]
	v_add_f64 v[20:21], v[22:23], v[20:21]
	s_delay_alu instid0(VALU_DEP_2) | instskip(SKIP_1) | instid1(VALU_DEP_2)
	v_fma_f64 v[34:35], v[130:131], s[14:15], v[32:33]
	v_fma_f64 v[22:23], v[130:131], s[14:15], -v[32:33]
	v_add_f64 v[2:3], v[34:35], v[2:3]
	v_mul_f64 v[34:35], v[184:185], s[42:43]
	s_delay_alu instid0(VALU_DEP_3) | instskip(NEXT) | instid1(VALU_DEP_2)
	v_add_f64 v[0:1], v[22:23], v[0:1]
	v_fma_f64 v[36:37], v[132:133], s[14:15], -v[34:35]
	v_fma_f64 v[22:23], v[132:133], s[14:15], v[34:35]
	s_delay_alu instid0(VALU_DEP_2) | instskip(SKIP_1) | instid1(VALU_DEP_3)
	v_add_f64 v[24:25], v[36:37], v[24:25]
	v_mul_f64 v[36:37], v[198:199], s[30:31]
	v_add_f64 v[20:21], v[22:23], v[20:21]
	s_delay_alu instid0(VALU_DEP_2) | instskip(SKIP_1) | instid1(VALU_DEP_2)
	v_fma_f64 v[38:39], v[134:135], s[26:27], v[36:37]
	v_fma_f64 v[22:23], v[134:135], s[26:27], -v[36:37]
	v_add_f64 v[2:3], v[38:39], v[2:3]
	v_mul_f64 v[38:39], v[188:189], s[30:31]
	s_delay_alu instid0(VALU_DEP_3) | instskip(NEXT) | instid1(VALU_DEP_2)
	v_add_f64 v[0:1], v[22:23], v[0:1]
	v_fma_f64 v[40:41], v[138:139], s[26:27], -v[38:39]
	v_fma_f64 v[22:23], v[138:139], s[26:27], v[38:39]
	s_delay_alu instid0(VALU_DEP_2) | instskip(SKIP_1) | instid1(VALU_DEP_3)
	v_add_f64 v[24:25], v[40:41], v[24:25]
	v_mul_f64 v[40:41], v[190:191], s[20:21]
	v_add_f64 v[20:21], v[22:23], v[20:21]
	s_delay_alu instid0(VALU_DEP_2) | instskip(SKIP_1) | instid1(VALU_DEP_2)
	v_fma_f64 v[42:43], v[142:143], s[10:11], v[40:41]
	v_fma_f64 v[22:23], v[142:143], s[10:11], -v[40:41]
	v_add_f64 v[74:75], v[42:43], v[2:3]
	v_mul_f64 v[2:3], v[196:197], s[20:21]
	s_delay_alu instid0(VALU_DEP_3) | instskip(SKIP_1) | instid1(VALU_DEP_3)
	v_add_f64 v[78:79], v[22:23], v[0:1]
	v_mul_f64 v[0:1], v[216:217], s[20:21]
	v_fma_f64 v[42:43], v[150:151], s[10:11], -v[2:3]
	v_fma_f64 v[2:3], v[150:151], s[10:11], v[2:3]
	s_delay_alu instid0(VALU_DEP_2) | instskip(NEXT) | instid1(VALU_DEP_2)
	v_add_f64 v[72:73], v[42:43], v[24:25]
	v_add_f64 v[76:77], v[2:3], v[20:21]
	v_fma_f64 v[2:3], v[212:213], s[10:11], v[0:1]
	v_mul_f64 v[20:21], v[176:177], s[36:37]
	v_fma_f64 v[0:1], v[212:213], s[10:11], -v[0:1]
	s_delay_alu instid0(VALU_DEP_3) | instskip(NEXT) | instid1(VALU_DEP_3)
	v_add_f64 v[2:3], v[234:235], v[2:3]
	v_fma_f64 v[22:23], v[110:111], s[12:13], v[20:21]
	v_fma_f64 v[20:21], v[110:111], s[12:13], -v[20:21]
	s_delay_alu instid0(VALU_DEP_4) | instskip(NEXT) | instid1(VALU_DEP_3)
	v_add_f64 v[0:1], v[234:235], v[0:1]
	v_add_f64 v[2:3], v[22:23], v[2:3]
	v_mul_f64 v[22:23], v[218:219], s[20:21]
	s_delay_alu instid0(VALU_DEP_3) | instskip(NEXT) | instid1(VALU_DEP_2)
	v_add_f64 v[0:1], v[20:21], v[0:1]
	v_fma_f64 v[24:25], v[214:215], s[10:11], -v[22:23]
	v_fma_f64 v[20:21], v[214:215], s[10:11], v[22:23]
	v_fma_f64 v[22:23], v[118:119], s[12:13], v[26:27]
	v_mul_f64 v[26:27], v[178:179], s[24:25]
	s_delay_alu instid0(VALU_DEP_4) | instskip(NEXT) | instid1(VALU_DEP_4)
	v_add_f64 v[24:25], v[232:233], v[24:25]
	v_add_f64 v[20:21], v[232:233], v[20:21]
	s_delay_alu instid0(VALU_DEP_2) | instskip(SKIP_1) | instid1(VALU_DEP_3)
	v_add_f64 v[24:25], v[28:29], v[24:25]
	v_mul_f64 v[28:29], v[182:183], s[30:31]
	v_add_f64 v[20:21], v[22:23], v[20:21]
	s_delay_alu instid0(VALU_DEP_2) | instskip(SKIP_2) | instid1(VALU_DEP_3)
	v_fma_f64 v[30:31], v[124:125], s[26:27], v[28:29]
	v_fma_f64 v[22:23], v[124:125], s[26:27], -v[28:29]
	v_fma_f64 v[28:29], v[118:119], s[14:15], -v[26:27]
	v_add_f64 v[2:3], v[30:31], v[2:3]
	v_mul_f64 v[30:31], v[180:181], s[30:31]
	s_delay_alu instid0(VALU_DEP_4) | instskip(NEXT) | instid1(VALU_DEP_2)
	v_add_f64 v[0:1], v[22:23], v[0:1]
	v_fma_f64 v[32:33], v[126:127], s[26:27], -v[30:31]
	v_fma_f64 v[22:23], v[126:127], s[26:27], v[30:31]
	s_delay_alu instid0(VALU_DEP_2) | instskip(SKIP_1) | instid1(VALU_DEP_3)
	v_add_f64 v[24:25], v[32:33], v[24:25]
	v_mul_f64 v[32:33], v[186:187], s[18:19]
	v_add_f64 v[20:21], v[22:23], v[20:21]
	s_delay_alu instid0(VALU_DEP_2) | instskip(SKIP_1) | instid1(VALU_DEP_2)
	v_fma_f64 v[34:35], v[130:131], s[8:9], v[32:33]
	v_fma_f64 v[22:23], v[130:131], s[8:9], -v[32:33]
	v_add_f64 v[2:3], v[34:35], v[2:3]
	v_mul_f64 v[34:35], v[184:185], s[18:19]
	s_delay_alu instid0(VALU_DEP_3) | instskip(NEXT) | instid1(VALU_DEP_2)
	v_add_f64 v[0:1], v[22:23], v[0:1]
	v_fma_f64 v[36:37], v[132:133], s[8:9], -v[34:35]
	v_fma_f64 v[22:23], v[132:133], s[8:9], v[34:35]
	s_delay_alu instid0(VALU_DEP_2) | instskip(SKIP_1) | instid1(VALU_DEP_3)
	v_add_f64 v[24:25], v[36:37], v[24:25]
	v_mul_f64 v[36:37], v[198:199], s[42:43]
	v_add_f64 v[20:21], v[22:23], v[20:21]
	s_delay_alu instid0(VALU_DEP_2) | instskip(SKIP_1) | instid1(VALU_DEP_2)
	v_fma_f64 v[38:39], v[134:135], s[14:15], v[36:37]
	v_fma_f64 v[22:23], v[134:135], s[14:15], -v[36:37]
	v_add_f64 v[2:3], v[38:39], v[2:3]
	v_mul_f64 v[38:39], v[188:189], s[42:43]
	s_delay_alu instid0(VALU_DEP_3) | instskip(NEXT) | instid1(VALU_DEP_2)
	v_add_f64 v[0:1], v[22:23], v[0:1]
	v_fma_f64 v[40:41], v[138:139], s[14:15], -v[38:39]
	v_fma_f64 v[22:23], v[138:139], s[14:15], v[38:39]
	s_delay_alu instid0(VALU_DEP_2) | instskip(SKIP_1) | instid1(VALU_DEP_3)
	v_add_f64 v[24:25], v[40:41], v[24:25]
	v_mul_f64 v[40:41], v[190:191], s[38:39]
	v_add_f64 v[20:21], v[22:23], v[20:21]
	s_delay_alu instid0(VALU_DEP_2) | instskip(SKIP_1) | instid1(VALU_DEP_2)
	v_fma_f64 v[42:43], v[142:143], s[0:1], v[40:41]
	v_fma_f64 v[22:23], v[142:143], s[0:1], -v[40:41]
	v_add_f64 v[82:83], v[42:43], v[2:3]
	v_mul_f64 v[2:3], v[196:197], s[38:39]
	s_delay_alu instid0(VALU_DEP_3) | instskip(SKIP_1) | instid1(VALU_DEP_3)
	v_add_f64 v[86:87], v[22:23], v[0:1]
	v_mul_f64 v[0:1], v[216:217], s[18:19]
	v_fma_f64 v[42:43], v[150:151], s[0:1], -v[2:3]
	v_fma_f64 v[2:3], v[150:151], s[0:1], v[2:3]
	s_delay_alu instid0(VALU_DEP_2) | instskip(NEXT) | instid1(VALU_DEP_2)
	v_add_f64 v[80:81], v[42:43], v[24:25]
	v_add_f64 v[84:85], v[2:3], v[20:21]
	v_fma_f64 v[2:3], v[212:213], s[8:9], v[0:1]
	v_mul_f64 v[20:21], v[176:177], s[24:25]
	v_fma_f64 v[0:1], v[212:213], s[8:9], -v[0:1]
	s_delay_alu instid0(VALU_DEP_3) | instskip(NEXT) | instid1(VALU_DEP_3)
	v_add_f64 v[2:3], v[234:235], v[2:3]
	v_fma_f64 v[22:23], v[110:111], s[14:15], v[20:21]
	v_fma_f64 v[20:21], v[110:111], s[14:15], -v[20:21]
	s_delay_alu instid0(VALU_DEP_4) | instskip(NEXT) | instid1(VALU_DEP_3)
	v_add_f64 v[0:1], v[234:235], v[0:1]
	v_add_f64 v[2:3], v[22:23], v[2:3]
	v_mul_f64 v[22:23], v[218:219], s[18:19]
	s_delay_alu instid0(VALU_DEP_3) | instskip(NEXT) | instid1(VALU_DEP_2)
	v_add_f64 v[0:1], v[20:21], v[0:1]
	v_fma_f64 v[24:25], v[214:215], s[8:9], -v[22:23]
	v_fma_f64 v[20:21], v[214:215], s[8:9], v[22:23]
	v_fma_f64 v[22:23], v[118:119], s[14:15], v[26:27]
	v_mul_f64 v[26:27], v[178:179], s[20:21]
	s_delay_alu instid0(VALU_DEP_4) | instskip(NEXT) | instid1(VALU_DEP_4)
	v_add_f64 v[24:25], v[232:233], v[24:25]
	v_add_f64 v[20:21], v[232:233], v[20:21]
	s_delay_alu instid0(VALU_DEP_2) | instskip(SKIP_1) | instid1(VALU_DEP_3)
	v_add_f64 v[24:25], v[28:29], v[24:25]
	v_mul_f64 v[28:29], v[182:183], s[40:41]
	v_add_f64 v[20:21], v[22:23], v[20:21]
	s_delay_alu instid0(VALU_DEP_2) | instskip(SKIP_2) | instid1(VALU_DEP_3)
	v_fma_f64 v[30:31], v[124:125], s[10:11], v[28:29]
	v_fma_f64 v[22:23], v[124:125], s[10:11], -v[28:29]
	v_fma_f64 v[28:29], v[118:119], s[10:11], -v[26:27]
	v_add_f64 v[2:3], v[30:31], v[2:3]
	v_mul_f64 v[30:31], v[180:181], s[40:41]
	s_delay_alu instid0(VALU_DEP_4) | instskip(NEXT) | instid1(VALU_DEP_2)
	v_add_f64 v[0:1], v[22:23], v[0:1]
	v_fma_f64 v[32:33], v[126:127], s[10:11], -v[30:31]
	v_fma_f64 v[22:23], v[126:127], s[10:11], v[30:31]
	s_delay_alu instid0(VALU_DEP_2) | instskip(SKIP_1) | instid1(VALU_DEP_3)
	v_add_f64 v[24:25], v[32:33], v[24:25]
	v_mul_f64 v[32:33], v[186:187], s[30:31]
	v_add_f64 v[20:21], v[22:23], v[20:21]
	s_delay_alu instid0(VALU_DEP_2) | instskip(SKIP_1) | instid1(VALU_DEP_2)
	v_fma_f64 v[34:35], v[130:131], s[26:27], v[32:33]
	v_fma_f64 v[22:23], v[130:131], s[26:27], -v[32:33]
	v_add_f64 v[2:3], v[34:35], v[2:3]
	v_mul_f64 v[34:35], v[184:185], s[30:31]
	s_delay_alu instid0(VALU_DEP_3) | instskip(NEXT) | instid1(VALU_DEP_2)
	v_add_f64 v[0:1], v[22:23], v[0:1]
	v_fma_f64 v[36:37], v[132:133], s[26:27], -v[34:35]
	v_fma_f64 v[22:23], v[132:133], s[26:27], v[34:35]
	s_delay_alu instid0(VALU_DEP_2) | instskip(SKIP_1) | instid1(VALU_DEP_3)
	v_add_f64 v[24:25], v[36:37], v[24:25]
	v_mul_f64 v[36:37], v[198:199], s[16:17]
	v_add_f64 v[20:21], v[22:23], v[20:21]
	s_delay_alu instid0(VALU_DEP_2) | instskip(SKIP_1) | instid1(VALU_DEP_2)
	v_fma_f64 v[38:39], v[134:135], s[0:1], v[36:37]
	v_fma_f64 v[22:23], v[134:135], s[0:1], -v[36:37]
	v_add_f64 v[2:3], v[38:39], v[2:3]
	v_mul_f64 v[38:39], v[188:189], s[16:17]
	s_delay_alu instid0(VALU_DEP_3) | instskip(NEXT) | instid1(VALU_DEP_2)
	v_add_f64 v[0:1], v[22:23], v[0:1]
	v_fma_f64 v[40:41], v[138:139], s[0:1], -v[38:39]
	v_fma_f64 v[22:23], v[138:139], s[0:1], v[38:39]
	s_delay_alu instid0(VALU_DEP_2) | instskip(SKIP_1) | instid1(VALU_DEP_3)
	v_add_f64 v[24:25], v[40:41], v[24:25]
	v_mul_f64 v[40:41], v[190:191], s[22:23]
	v_add_f64 v[20:21], v[22:23], v[20:21]
	s_delay_alu instid0(VALU_DEP_2) | instskip(SKIP_1) | instid1(VALU_DEP_2)
	v_fma_f64 v[42:43], v[142:143], s[12:13], v[40:41]
	v_fma_f64 v[22:23], v[142:143], s[12:13], -v[40:41]
	v_add_f64 v[90:91], v[42:43], v[2:3]
	v_mul_f64 v[2:3], v[196:197], s[22:23]
	s_delay_alu instid0(VALU_DEP_3) | instskip(SKIP_1) | instid1(VALU_DEP_3)
	v_add_f64 v[94:95], v[22:23], v[0:1]
	v_mul_f64 v[0:1], v[216:217], s[16:17]
	v_fma_f64 v[42:43], v[150:151], s[12:13], -v[2:3]
	v_fma_f64 v[2:3], v[150:151], s[12:13], v[2:3]
	s_delay_alu instid0(VALU_DEP_2) | instskip(NEXT) | instid1(VALU_DEP_2)
	v_add_f64 v[88:89], v[42:43], v[24:25]
	v_add_f64 v[92:93], v[2:3], v[20:21]
	v_fma_f64 v[2:3], v[212:213], s[0:1], v[0:1]
	v_mul_f64 v[20:21], v[176:177], s[20:21]
	v_fma_f64 v[0:1], v[212:213], s[0:1], -v[0:1]
	s_delay_alu instid0(VALU_DEP_3) | instskip(NEXT) | instid1(VALU_DEP_3)
	v_add_f64 v[2:3], v[234:235], v[2:3]
	v_fma_f64 v[22:23], v[110:111], s[10:11], v[20:21]
	v_fma_f64 v[20:21], v[110:111], s[10:11], -v[20:21]
	s_delay_alu instid0(VALU_DEP_4) | instskip(NEXT) | instid1(VALU_DEP_3)
	v_add_f64 v[0:1], v[234:235], v[0:1]
	v_add_f64 v[2:3], v[22:23], v[2:3]
	v_mul_f64 v[22:23], v[218:219], s[16:17]
	s_delay_alu instid0(VALU_DEP_3) | instskip(NEXT) | instid1(VALU_DEP_2)
	v_add_f64 v[0:1], v[20:21], v[0:1]
	v_fma_f64 v[24:25], v[214:215], s[0:1], -v[22:23]
	v_fma_f64 v[20:21], v[214:215], s[0:1], v[22:23]
	v_fma_f64 v[22:23], v[118:119], s[10:11], v[26:27]
	s_delay_alu instid0(VALU_DEP_3) | instskip(NEXT) | instid1(VALU_DEP_3)
	v_add_f64 v[24:25], v[232:233], v[24:25]
	v_add_f64 v[20:21], v[232:233], v[20:21]
	s_delay_alu instid0(VALU_DEP_2) | instskip(SKIP_1) | instid1(VALU_DEP_3)
	v_add_f64 v[24:25], v[28:29], v[24:25]
	v_mul_f64 v[28:29], v[182:183], s[24:25]
	v_add_f64 v[20:21], v[22:23], v[20:21]
	s_delay_alu instid0(VALU_DEP_2) | instskip(SKIP_1) | instid1(VALU_DEP_2)
	v_fma_f64 v[30:31], v[124:125], s[14:15], v[28:29]
	v_fma_f64 v[22:23], v[124:125], s[14:15], -v[28:29]
	v_add_f64 v[2:3], v[30:31], v[2:3]
	v_mul_f64 v[30:31], v[180:181], s[24:25]
	s_delay_alu instid0(VALU_DEP_3) | instskip(NEXT) | instid1(VALU_DEP_2)
	v_add_f64 v[0:1], v[22:23], v[0:1]
	v_fma_f64 v[32:33], v[126:127], s[14:15], -v[30:31]
	v_fma_f64 v[22:23], v[126:127], s[14:15], v[30:31]
	s_delay_alu instid0(VALU_DEP_2) | instskip(SKIP_1) | instid1(VALU_DEP_3)
	v_add_f64 v[24:25], v[32:33], v[24:25]
	v_mul_f64 v[32:33], v[186:187], s[36:37]
	v_add_f64 v[20:21], v[22:23], v[20:21]
	s_delay_alu instid0(VALU_DEP_2) | instskip(SKIP_1) | instid1(VALU_DEP_2)
	v_fma_f64 v[34:35], v[130:131], s[12:13], v[32:33]
	v_fma_f64 v[22:23], v[130:131], s[12:13], -v[32:33]
	v_add_f64 v[2:3], v[34:35], v[2:3]
	v_mul_f64 v[34:35], v[184:185], s[36:37]
	s_delay_alu instid0(VALU_DEP_3) | instskip(NEXT) | instid1(VALU_DEP_2)
	v_add_f64 v[0:1], v[22:23], v[0:1]
	v_fma_f64 v[36:37], v[132:133], s[12:13], -v[34:35]
	v_fma_f64 v[22:23], v[132:133], s[12:13], v[34:35]
	;; [unrolled: 13-line block ×3, first 2 shown]
	s_delay_alu instid0(VALU_DEP_2) | instskip(SKIP_1) | instid1(VALU_DEP_3)
	v_add_f64 v[24:25], v[40:41], v[24:25]
	v_mul_f64 v[40:41], v[190:191], s[30:31]
	v_add_f64 v[20:21], v[22:23], v[20:21]
	s_delay_alu instid0(VALU_DEP_2) | instskip(SKIP_1) | instid1(VALU_DEP_2)
	v_fma_f64 v[42:43], v[142:143], s[26:27], v[40:41]
	v_fma_f64 v[22:23], v[142:143], s[26:27], -v[40:41]
	v_add_f64 v[98:99], v[42:43], v[2:3]
	v_mul_f64 v[2:3], v[196:197], s[30:31]
	s_delay_alu instid0(VALU_DEP_3) | instskip(SKIP_1) | instid1(VALU_DEP_3)
	v_add_f64 v[102:103], v[22:23], v[0:1]
	v_mul_f64 v[0:1], v[216:217], s[28:29]
	v_fma_f64 v[42:43], v[150:151], s[26:27], -v[2:3]
	v_fma_f64 v[2:3], v[150:151], s[26:27], v[2:3]
	s_delay_alu instid0(VALU_DEP_2) | instskip(NEXT) | instid1(VALU_DEP_2)
	v_add_f64 v[96:97], v[42:43], v[24:25]
	v_add_f64 v[100:101], v[2:3], v[20:21]
	v_mul_f64 v[20:21], v[218:219], s[28:29]
	v_fma_f64 v[2:3], v[212:213], s[26:27], v[0:1]
	v_fma_f64 v[0:1], v[212:213], s[26:27], -v[0:1]
	v_mul_f64 v[24:25], v[176:177], s[16:17]
	v_mul_f64 v[42:43], v[190:191], s[24:25]
	v_fma_f64 v[22:23], v[214:215], s[26:27], -v[20:21]
	v_fma_f64 v[20:21], v[214:215], s[26:27], v[20:21]
	v_add_f64 v[212:213], v[234:235], v[2:3]
	v_add_f64 v[0:1], v[234:235], v[0:1]
	v_fma_f64 v[26:27], v[110:111], s[0:1], -v[24:25]
	v_add_f64 v[214:215], v[232:233], v[22:23]
	v_add_f64 v[2:3], v[232:233], v[20:21]
	;; [unrolled: 1-line block ×5, first 2 shown]
	v_mul_f64 v[26:27], v[182:183], s[18:19]
	s_delay_alu instid0(VALU_DEP_4) | instskip(NEXT) | instid1(VALU_DEP_4)
	v_add_f64 v[20:21], v[20:21], v[170:171]
	v_add_f64 v[22:23], v[22:23], v[168:169]
	s_delay_alu instid0(VALU_DEP_3) | instskip(NEXT) | instid1(VALU_DEP_3)
	v_fma_f64 v[28:29], v[124:125], s[8:9], -v[26:27]
	v_add_f64 v[20:21], v[20:21], v[166:167]
	s_delay_alu instid0(VALU_DEP_3) | instskip(NEXT) | instid1(VALU_DEP_3)
	v_add_f64 v[22:23], v[22:23], v[164:165]
	v_add_f64 v[0:1], v[28:29], v[0:1]
	v_mul_f64 v[28:29], v[186:187], s[20:21]
	s_delay_alu instid0(VALU_DEP_4) | instskip(NEXT) | instid1(VALU_DEP_4)
	v_add_f64 v[20:21], v[20:21], v[162:163]
	v_add_f64 v[22:23], v[22:23], v[160:161]
	s_delay_alu instid0(VALU_DEP_3) | instskip(SKIP_1) | instid1(VALU_DEP_4)
	v_fma_f64 v[30:31], v[130:131], s[10:11], -v[28:29]
	v_fma_f64 v[28:29], v[130:131], s[10:11], v[28:29]
	v_add_f64 v[20:21], v[20:21], v[158:159]
	s_delay_alu instid0(VALU_DEP_4) | instskip(NEXT) | instid1(VALU_DEP_4)
	v_add_f64 v[22:23], v[22:23], v[156:157]
	v_add_f64 v[0:1], v[30:31], v[0:1]
	v_mul_f64 v[30:31], v[198:199], s[22:23]
	s_delay_alu instid0(VALU_DEP_4) | instskip(NEXT) | instid1(VALU_DEP_4)
	v_add_f64 v[20:21], v[20:21], v[154:155]
	v_add_f64 v[22:23], v[22:23], v[148:149]
	s_delay_alu instid0(VALU_DEP_3) | instskip(NEXT) | instid1(VALU_DEP_3)
	v_fma_f64 v[32:33], v[134:135], s[12:13], -v[30:31]
	v_add_f64 v[20:21], v[20:21], v[152:153]
	s_delay_alu instid0(VALU_DEP_3) | instskip(NEXT) | instid1(VALU_DEP_3)
	v_add_f64 v[22:23], v[22:23], v[140:141]
	v_add_f64 v[0:1], v[32:33], v[0:1]
	v_mul_f64 v[32:33], v[178:179], s[16:17]
	s_delay_alu instid0(VALU_DEP_4) | instskip(NEXT) | instid1(VALU_DEP_4)
	v_add_f64 v[20:21], v[20:21], v[136:137]
	v_add_f64 v[22:23], v[22:23], v[128:129]
	s_delay_alu instid0(VALU_DEP_3) | instskip(NEXT) | instid1(VALU_DEP_3)
	v_fma_f64 v[34:35], v[118:119], s[0:1], v[32:33]
	v_add_f64 v[20:21], v[20:21], v[122:123]
	s_delay_alu instid0(VALU_DEP_3) | instskip(NEXT) | instid1(VALU_DEP_3)
	v_add_f64 v[22:23], v[22:23], v[120:121]
	v_add_f64 v[2:3], v[34:35], v[2:3]
	v_mul_f64 v[34:35], v[180:181], s[18:19]
	s_delay_alu instid0(VALU_DEP_4) | instskip(NEXT) | instid1(VALU_DEP_4)
	v_add_f64 v[20:21], v[20:21], v[114:115]
	v_add_f64 v[22:23], v[22:23], v[112:113]
	s_delay_alu instid0(VALU_DEP_3) | instskip(NEXT) | instid1(VALU_DEP_3)
	v_fma_f64 v[36:37], v[126:127], s[8:9], v[34:35]
	v_add_f64 v[20:21], v[20:21], v[108:109]
	s_delay_alu instid0(VALU_DEP_3) | instskip(NEXT) | instid1(VALU_DEP_3)
	v_add_f64 v[22:23], v[22:23], v[104:105]
	v_add_f64 v[2:3], v[36:37], v[2:3]
	v_mul_f64 v[36:37], v[184:185], s[20:21]
	s_delay_alu instid0(VALU_DEP_4)
	v_add_f64 v[108:109], v[20:21], v[116:117]
	v_fma_f64 v[20:21], v[110:111], s[0:1], v[24:25]
	v_fma_f64 v[24:25], v[124:125], s[8:9], v[26:27]
	v_add_f64 v[106:107], v[22:23], v[106:107]
	v_fma_f64 v[22:23], v[118:119], s[0:1], -v[32:33]
	v_fma_f64 v[26:27], v[126:127], s[8:9], -v[34:35]
	v_fma_f64 v[38:39], v[132:133], s[10:11], v[36:37]
	v_fma_f64 v[32:33], v[132:133], s[10:11], -v[36:37]
	v_add_f64 v[20:21], v[20:21], v[212:213]
	v_add_f64 v[22:23], v[22:23], v[214:215]
	s_delay_alu instid0(VALU_DEP_4) | instskip(SKIP_1) | instid1(VALU_DEP_4)
	v_add_f64 v[2:3], v[38:39], v[2:3]
	v_mul_f64 v[38:39], v[188:189], s[22:23]
	v_add_f64 v[20:21], v[24:25], v[20:21]
	v_fma_f64 v[24:25], v[134:135], s[12:13], v[30:31]
	v_fma_f64 v[30:31], v[150:151], s[14:15], -v[44:45]
	v_add_f64 v[22:23], v[26:27], v[22:23]
	v_fma_f64 v[40:41], v[138:139], s[12:13], v[38:39]
	v_fma_f64 v[26:27], v[138:139], s[12:13], -v[38:39]
	v_add_f64 v[20:21], v[28:29], v[20:21]
	v_fma_f64 v[28:29], v[142:143], s[14:15], v[42:43]
	v_add_f64 v[22:23], v[32:33], v[22:23]
	v_add_f64 v[40:41], v[40:41], v[2:3]
	v_fma_f64 v[2:3], v[142:143], s[14:15], -v[42:43]
	v_add_f64 v[20:21], v[24:25], v[20:21]
	s_delay_alu instid0(VALU_DEP_4) | instskip(NEXT) | instid1(VALU_DEP_3)
	v_add_f64 v[22:23], v[26:27], v[22:23]
	v_add_f64 v[2:3], v[2:3], v[0:1]
	v_fma_f64 v[0:1], v[150:151], s[14:15], v[44:45]
	s_delay_alu instid0(VALU_DEP_4)
	v_add_f64 v[112:113], v[28:29], v[20:21]
	s_clause 0x1
	scratch_load_b32 v20, off, off offset:436
	scratch_load_b32 v21, off, off offset:4
	v_add_f64 v[110:111], v[30:31], v[22:23]
	v_add_f64 v[0:1], v[0:1], v[40:41]
	s_waitcnt vmcnt(1)
	v_mul_u32_u24_e32 v20, 52, v20
	s_waitcnt vmcnt(0)
	s_delay_alu instid0(VALU_DEP_1) | instskip(NEXT) | instid1(VALU_DEP_1)
	v_or_b32_e32 v20, v20, v21
	v_lshlrev_b32_e32 v20, 4, v20
	ds_store_b128 v20, v[0:3] offset:64
	ds_store_b128 v20, v[100:103] offset:128
	;; [unrolled: 1-line block ×11, first 2 shown]
	ds_store_b128 v20, v[106:109]
	ds_store_b128 v20, v[110:113] offset:768
.LBB0_9:
	s_or_b32 exec_lo, exec_lo, s33
	s_waitcnt lgkmcnt(0)
	s_barrier
	buffer_gl0_inv
	s_clause 0x1
	scratch_load_b128 v[30:33], off, off offset:496
	scratch_load_b128 v[34:37], off, off offset:512
	ds_load_b128 v[0:3], v240 offset:9984
	ds_load_b128 v[76:79], v240 offset:1664
	s_clause 0x2
	scratch_load_b128 v[38:41], off, off offset:528
	scratch_load_b128 v[42:45], off, off offset:544
	;; [unrolled: 1-line block ×3, first 2 shown]
	s_mov_b32 s0, 0xe8584caa
	s_mov_b32 s1, 0xbfebb67a
	s_mov_b32 s9, 0x3febb67a
	s_mov_b32 s8, s0
	s_waitcnt lgkmcnt(1)
	v_mul_f64 v[20:21], v[146:147], v[2:3]
	s_delay_alu instid0(VALU_DEP_1) | instskip(SKIP_1) | instid1(VALU_DEP_1)
	v_fma_f64 v[20:21], v[144:145], v[0:1], v[20:21]
	v_mul_f64 v[0:1], v[146:147], v[0:1]
	v_fma_f64 v[22:23], v[144:145], v[2:3], -v[0:1]
	ds_load_b128 v[0:3], v240 offset:10816
	s_waitcnt lgkmcnt(0)
	v_mul_f64 v[24:25], v[146:147], v[2:3]
	s_delay_alu instid0(VALU_DEP_1) | instskip(SKIP_1) | instid1(VALU_DEP_1)
	v_fma_f64 v[24:25], v[144:145], v[0:1], v[24:25]
	v_mul_f64 v[0:1], v[146:147], v[0:1]
	v_fma_f64 v[26:27], v[144:145], v[2:3], -v[0:1]
	ds_load_b128 v[0:3], v240 offset:11648
	s_waitcnt vmcnt(4) lgkmcnt(0)
	v_mul_f64 v[28:29], v[32:33], v[2:3]
	s_delay_alu instid0(VALU_DEP_1) | instskip(SKIP_1) | instid1(VALU_DEP_2)
	v_fma_f64 v[28:29], v[30:31], v[0:1], v[28:29]
	v_mul_f64 v[0:1], v[32:33], v[0:1]
	v_add_f64 v[80:81], v[76:77], -v[28:29]
	s_delay_alu instid0(VALU_DEP_2)
	v_fma_f64 v[30:31], v[30:31], v[2:3], -v[0:1]
	ds_load_b128 v[0:3], v240 offset:12480
	s_waitcnt vmcnt(3) lgkmcnt(0)
	v_mul_f64 v[32:33], v[36:37], v[2:3]
	v_fma_f64 v[76:77], v[76:77], 2.0, -v[80:81]
	v_add_f64 v[82:83], v[78:79], -v[30:31]
	s_delay_alu instid0(VALU_DEP_3) | instskip(SKIP_1) | instid1(VALU_DEP_3)
	v_fma_f64 v[32:33], v[34:35], v[0:1], v[32:33]
	v_mul_f64 v[0:1], v[36:37], v[0:1]
	v_fma_f64 v[78:79], v[78:79], 2.0, -v[82:83]
	s_delay_alu instid0(VALU_DEP_2) | instskip(SKIP_3) | instid1(VALU_DEP_1)
	v_fma_f64 v[34:35], v[34:35], v[2:3], -v[0:1]
	ds_load_b128 v[0:3], v240 offset:13312
	s_waitcnt vmcnt(2) lgkmcnt(0)
	v_mul_f64 v[36:37], v[40:41], v[2:3]
	v_fma_f64 v[36:37], v[38:39], v[0:1], v[36:37]
	v_mul_f64 v[0:1], v[40:41], v[0:1]
	s_delay_alu instid0(VALU_DEP_1) | instskip(SKIP_3) | instid1(VALU_DEP_1)
	v_fma_f64 v[38:39], v[38:39], v[2:3], -v[0:1]
	ds_load_b128 v[0:3], v240 offset:14144
	s_waitcnt vmcnt(1) lgkmcnt(0)
	v_mul_f64 v[40:41], v[44:45], v[2:3]
	v_fma_f64 v[40:41], v[42:43], v[0:1], v[40:41]
	v_mul_f64 v[0:1], v[44:45], v[0:1]
	s_delay_alu instid0(VALU_DEP_1) | instskip(SKIP_3) | instid1(VALU_DEP_1)
	v_fma_f64 v[42:43], v[42:43], v[2:3], -v[0:1]
	ds_load_b128 v[0:3], v240 offset:14976
	s_waitcnt vmcnt(0) lgkmcnt(0)
	v_mul_f64 v[44:45], v[66:67], v[2:3]
	v_fma_f64 v[44:45], v[64:65], v[0:1], v[44:45]
	v_mul_f64 v[0:1], v[66:67], v[0:1]
	scratch_load_b128 v[66:69], off, off offset:576 ; 16-byte Folded Reload
	v_fma_f64 v[46:47], v[64:65], v[2:3], -v[0:1]
	ds_load_b128 v[0:3], v240 offset:15808
	s_waitcnt vmcnt(0) lgkmcnt(0)
	v_mul_f64 v[64:65], v[68:69], v[2:3]
	s_delay_alu instid0(VALU_DEP_1) | instskip(SKIP_1) | instid1(VALU_DEP_1)
	v_fma_f64 v[120:121], v[66:67], v[0:1], v[64:65]
	v_mul_f64 v[0:1], v[68:69], v[0:1]
	v_fma_f64 v[122:123], v[66:67], v[2:3], -v[0:1]
	scratch_load_b128 v[66:69], off, off offset:592 ; 16-byte Folded Reload
	ds_load_b128 v[0:3], v240 offset:16640
	s_waitcnt vmcnt(0) lgkmcnt(0)
	v_mul_f64 v[64:65], v[68:69], v[2:3]
	s_delay_alu instid0(VALU_DEP_1) | instskip(SKIP_1) | instid1(VALU_DEP_1)
	v_fma_f64 v[124:125], v[66:67], v[0:1], v[64:65]
	v_mul_f64 v[0:1], v[68:69], v[0:1]
	v_fma_f64 v[126:127], v[66:67], v[2:3], -v[0:1]
	scratch_load_b128 v[66:69], off, off offset:608 ; 16-byte Folded Reload
	;; [unrolled: 8-line block ×4, first 2 shown]
	ds_load_b128 v[0:3], v240 offset:19136
	s_waitcnt vmcnt(0) lgkmcnt(0)
	v_mul_f64 v[64:65], v[68:69], v[2:3]
	s_delay_alu instid0(VALU_DEP_1)
	v_fma_f64 v[136:137], v[66:67], v[0:1], v[64:65]
	v_mul_f64 v[0:1], v[68:69], v[0:1]
	ds_load_b128 v[68:71], v240 offset:832
	s_waitcnt lgkmcnt(0)
	v_add_f64 v[72:73], v[68:69], -v[24:25]
	v_add_f64 v[74:75], v[70:71], -v[26:27]
	v_fma_f64 v[138:139], v[66:67], v[2:3], -v[0:1]
	ds_load_b128 v[0:3], v240
	ds_load_b128 v[84:87], v240 offset:2496
	ds_load_b128 v[88:91], v240 offset:3328
	;; [unrolled: 1-line block ×9, first 2 shown]
	s_waitcnt lgkmcnt(0)
	s_barrier
	buffer_gl0_inv
	v_add_f64 v[64:65], v[0:1], -v[20:21]
	v_add_f64 v[66:67], v[2:3], -v[22:23]
	v_fma_f64 v[68:69], v[68:69], 2.0, -v[72:73]
	v_fma_f64 v[70:71], v[70:71], 2.0, -v[74:75]
	s_delay_alu instid0(VALU_DEP_4) | instskip(NEXT) | instid1(VALU_DEP_4)
	v_fma_f64 v[0:1], v[0:1], 2.0, -v[64:65]
	v_fma_f64 v[2:3], v[2:3], 2.0, -v[66:67]
	ds_store_b128 v240, v[64:67] offset:832
	ds_store_b128 v240, v[72:75] offset:2496
	ds_store_b128 v240, v[0:3]
	ds_store_b128 v240, v[68:71] offset:1664
	scratch_load_b32 v0, off, off offset:472 ; 4-byte Folded Reload
	v_add_f64 v[2:3], v[86:87], -v[34:35]
	s_waitcnt vmcnt(0)
	ds_store_b128 v0, v[76:79] offset:3328
	ds_store_b128 v0, v[80:83] offset:4160
	scratch_load_b32 v20, off, off offset:488 ; 4-byte Folded Reload
	v_add_f64 v[0:1], v[84:85], -v[32:33]
	v_fma_f64 v[66:67], v[86:87], 2.0, -v[2:3]
	s_delay_alu instid0(VALU_DEP_2)
	v_fma_f64 v[64:65], v[84:85], 2.0, -v[0:1]
	s_waitcnt vmcnt(0)
	ds_store_b128 v20, v[64:67] offset:4992
	ds_store_b128 v20, v[0:3] offset:5824
	scratch_load_b32 v20, off, off offset:480 ; 4-byte Folded Reload
	v_add_f64 v[0:1], v[88:89], -v[36:37]
	v_add_f64 v[2:3], v[90:91], -v[38:39]
	s_delay_alu instid0(VALU_DEP_2) | instskip(NEXT) | instid1(VALU_DEP_2)
	v_fma_f64 v[64:65], v[88:89], 2.0, -v[0:1]
	v_fma_f64 v[66:67], v[90:91], 2.0, -v[2:3]
	s_waitcnt vmcnt(0)
	ds_store_b128 v20, v[64:67] offset:6656
	ds_store_b128 v20, v[0:3] offset:7488
	scratch_load_b32 v20, off, off offset:464 ; 4-byte Folded Reload
	v_add_f64 v[0:1], v[92:93], -v[40:41]
	v_add_f64 v[2:3], v[94:95], -v[42:43]
	s_delay_alu instid0(VALU_DEP_2) | instskip(NEXT) | instid1(VALU_DEP_2)
	v_fma_f64 v[64:65], v[92:93], 2.0, -v[0:1]
	;; [unrolled: 9-line block ×8, first 2 shown]
	v_fma_f64 v[66:67], v[118:119], 2.0, -v[2:3]
	s_waitcnt vmcnt(0)
	ds_store_b128 v20, v[64:67] offset:18304
	ds_store_b128 v20, v[0:3] offset:19136
	s_waitcnt lgkmcnt(0)
	s_barrier
	buffer_gl0_inv
	ds_load_b128 v[0:3], v240 offset:6656
	ds_load_b128 v[108:111], v240 offset:3328
	scratch_load_b128 v[66:69], off, off offset:672 ; 16-byte Folded Reload
	ds_load_b128 v[84:87], v240 offset:1664
	ds_load_b128 v[96:99], v240 offset:2496
	;; [unrolled: 1-line block ×3, first 2 shown]
	s_waitcnt lgkmcnt(4)
	v_mul_f64 v[20:21], v[194:195], v[2:3]
	s_delay_alu instid0(VALU_DEP_1) | instskip(SKIP_1) | instid1(VALU_DEP_1)
	v_fma_f64 v[20:21], v[192:193], v[0:1], v[20:21]
	v_mul_f64 v[0:1], v[194:195], v[0:1]
	v_fma_f64 v[22:23], v[192:193], v[2:3], -v[0:1]
	ds_load_b128 v[0:3], v240 offset:8320
	s_waitcnt lgkmcnt(0)
	v_mul_f64 v[24:25], v[194:195], v[2:3]
	s_delay_alu instid0(VALU_DEP_1) | instskip(SKIP_1) | instid1(VALU_DEP_1)
	v_fma_f64 v[24:25], v[192:193], v[0:1], v[24:25]
	v_mul_f64 v[0:1], v[194:195], v[0:1]
	v_fma_f64 v[26:27], v[192:193], v[2:3], -v[0:1]
	ds_load_b128 v[0:3], v240 offset:13312
	;; [unrolled: 7-line block ×8, first 2 shown]
	s_waitcnt vmcnt(0) lgkmcnt(0)
	v_mul_f64 v[64:65], v[68:69], v[2:3]
	s_delay_alu instid0(VALU_DEP_1) | instskip(SKIP_1) | instid1(VALU_DEP_1)
	v_fma_f64 v[112:113], v[66:67], v[0:1], v[64:65]
	v_mul_f64 v[0:1], v[68:69], v[0:1]
	v_fma_f64 v[114:115], v[66:67], v[2:3], -v[0:1]
	scratch_load_b128 v[66:69], off, off offset:656 ; 16-byte Folded Reload
	ds_load_b128 v[0:3], v240 offset:16640
	s_waitcnt vmcnt(0) lgkmcnt(0)
	v_mul_f64 v[64:65], v[68:69], v[2:3]
	s_delay_alu instid0(VALU_DEP_1) | instskip(SKIP_1) | instid1(VALU_DEP_1)
	v_fma_f64 v[116:117], v[66:67], v[0:1], v[64:65]
	v_mul_f64 v[0:1], v[68:69], v[0:1]
	v_fma_f64 v[118:119], v[66:67], v[2:3], -v[0:1]
	scratch_load_b128 v[66:69], off, off offset:704 ; 16-byte Folded Reload
	ds_load_b128 v[0:3], v240 offset:10816
	;; [unrolled: 8-line block ×7, first 2 shown]
	s_waitcnt vmcnt(0) lgkmcnt(0)
	v_mul_f64 v[64:65], v[68:69], v[2:3]
	s_delay_alu instid0(VALU_DEP_1) | instskip(SKIP_2) | instid1(VALU_DEP_2)
	v_fma_f64 v[152:153], v[66:67], v[0:1], v[64:65]
	v_mul_f64 v[0:1], v[68:69], v[0:1]
	v_add_f64 v[64:65], v[20:21], v[28:29]
	v_fma_f64 v[154:155], v[66:67], v[2:3], -v[0:1]
	ds_load_b128 v[0:3], v240
	ds_load_b128 v[120:123], v240 offset:4160
	ds_load_b128 v[124:127], v240 offset:4992
	;; [unrolled: 1-line block ×3, first 2 shown]
	s_waitcnt lgkmcnt(0)
	s_barrier
	buffer_gl0_inv
	v_fma_f64 v[66:67], v[64:65], -0.5, v[0:1]
	v_add_f64 v[64:65], v[22:23], v[30:31]
	v_add_f64 v[0:1], v[0:1], v[20:21]
	v_add_f64 v[20:21], v[20:21], -v[28:29]
	s_delay_alu instid0(VALU_DEP_3) | instskip(SKIP_4) | instid1(VALU_DEP_4)
	v_fma_f64 v[70:71], v[64:65], -0.5, v[2:3]
	v_add_f64 v[2:3], v[2:3], v[22:23]
	v_add_f64 v[22:23], v[22:23], -v[30:31]
	v_add_f64 v[0:1], v[0:1], v[28:29]
	v_add_f64 v[28:29], v[74:75], v[38:39]
	;; [unrolled: 1-line block ×3, first 2 shown]
	s_delay_alu instid0(VALU_DEP_4)
	v_fma_f64 v[64:65], v[22:23], s[0:1], v[66:67]
	v_fma_f64 v[68:69], v[22:23], s[8:9], v[66:67]
	;; [unrolled: 1-line block ×4, first 2 shown]
	v_add_f64 v[20:21], v[36:37], v[44:45]
	v_add_f64 v[22:23], v[38:39], v[46:47]
	v_add_f64 v[38:39], v[38:39], -v[46:47]
	v_add_f64 v[30:31], v[72:73], v[36:37]
	s_delay_alu instid0(VALU_DEP_4) | instskip(NEXT) | instid1(VALU_DEP_4)
	v_fma_f64 v[20:21], v[20:21], -0.5, v[72:73]
	v_fma_f64 v[22:23], v[22:23], -0.5, v[74:75]
	v_add_f64 v[74:75], v[28:29], v[46:47]
	v_add_f64 v[28:29], v[36:37], -v[44:45]
	v_add_f64 v[72:73], v[30:31], v[44:45]
	v_add_f64 v[30:31], v[84:85], v[24:25]
	v_fma_f64 v[76:77], v[38:39], s[0:1], v[20:21]
	v_fma_f64 v[80:81], v[38:39], s[8:9], v[20:21]
	v_add_f64 v[20:21], v[24:25], v[32:33]
	v_fma_f64 v[78:79], v[28:29], s[8:9], v[22:23]
	v_fma_f64 v[82:83], v[28:29], s[0:1], v[22:23]
	v_add_f64 v[22:23], v[26:27], v[34:35]
	v_add_f64 v[28:29], v[86:87], v[26:27]
	v_add_f64 v[26:27], v[26:27], -v[34:35]
	v_add_f64 v[24:25], v[24:25], -v[32:33]
	v_fma_f64 v[20:21], v[20:21], -0.5, v[84:85]
	v_add_f64 v[84:85], v[30:31], v[32:33]
	v_fma_f64 v[22:23], v[22:23], -0.5, v[86:87]
	v_add_f64 v[86:87], v[28:29], v[34:35]
	v_add_f64 v[28:29], v[42:43], -v[102:103]
	v_fma_f64 v[88:89], v[26:27], s[0:1], v[20:21]
	v_fma_f64 v[92:93], v[26:27], s[8:9], v[20:21]
	v_add_f64 v[20:21], v[40:41], v[100:101]
	v_fma_f64 v[90:91], v[24:25], s[8:9], v[22:23]
	v_fma_f64 v[94:95], v[24:25], s[0:1], v[22:23]
	v_add_f64 v[22:23], v[42:43], v[102:103]
	v_add_f64 v[24:25], v[98:99], v[42:43]
	;; [unrolled: 1-line block ×3, first 2 shown]
	v_fma_f64 v[20:21], v[20:21], -0.5, v[96:97]
	s_delay_alu instid0(VALU_DEP_4) | instskip(NEXT) | instid1(VALU_DEP_4)
	v_fma_f64 v[22:23], v[22:23], -0.5, v[98:99]
	v_add_f64 v[98:99], v[24:25], v[102:103]
	v_add_f64 v[24:25], v[40:41], -v[100:101]
	v_add_f64 v[96:97], v[26:27], v[100:101]
	v_add_f64 v[26:27], v[108:109], v[112:113]
	v_fma_f64 v[100:101], v[28:29], s[0:1], v[20:21]
	v_fma_f64 v[104:105], v[28:29], s[8:9], v[20:21]
	v_add_f64 v[20:21], v[112:113], v[116:117]
	v_add_f64 v[28:29], v[114:115], -v[118:119]
	v_fma_f64 v[102:103], v[24:25], s[8:9], v[22:23]
	v_fma_f64 v[106:107], v[24:25], s[0:1], v[22:23]
	ds_store_b128 v240, v[0:3]
	ds_store_b128 v240, v[72:75] offset:832
	ds_store_b128 v240, v[84:87] offset:4992
	;; [unrolled: 1-line block ×11, first 2 shown]
	scratch_load_b32 v0, off, off offset:1000 ; 4-byte Folded Reload
	v_add_f64 v[22:23], v[114:115], v[118:119]
	v_add_f64 v[24:25], v[110:111], v[114:115]
	v_fma_f64 v[20:21], v[20:21], -0.5, v[108:109]
	v_add_f64 v[108:109], v[26:27], v[116:117]
	v_add_f64 v[26:27], v[134:135], -v[138:139]
	v_fma_f64 v[22:23], v[22:23], -0.5, v[110:111]
	v_add_f64 v[110:111], v[24:25], v[118:119]
	v_add_f64 v[24:25], v[112:113], -v[116:117]
	v_fma_f64 v[112:113], v[28:29], s[0:1], v[20:21]
	v_fma_f64 v[116:117], v[28:29], s[8:9], v[20:21]
	s_delay_alu instid0(VALU_DEP_3)
	v_fma_f64 v[114:115], v[24:25], s[8:9], v[22:23]
	v_fma_f64 v[118:119], v[24:25], s[0:1], v[22:23]
	v_add_f64 v[24:25], v[120:121], v[132:133]
	s_waitcnt vmcnt(0)
	ds_store_b128 v0, v[108:111] offset:9984
	ds_store_b128 v0, v[112:115] offset:11648
	;; [unrolled: 1-line block ×3, first 2 shown]
	v_add_f64 v[0:1], v[132:133], v[136:137]
	s_delay_alu instid0(VALU_DEP_1) | instskip(SKIP_1) | instid1(VALU_DEP_2)
	v_fma_f64 v[20:21], v[0:1], -0.5, v[120:121]
	v_add_f64 v[0:1], v[134:135], v[138:139]
	v_fma_f64 v[64:65], v[26:27], s[0:1], v[20:21]
	v_fma_f64 v[68:69], v[26:27], s[8:9], v[20:21]
	scratch_load_b32 v20, off, off offset:988 ; 4-byte Folded Reload
	v_fma_f64 v[22:23], v[0:1], -0.5, v[122:123]
	v_add_f64 v[0:1], v[122:123], v[134:135]
	v_add_f64 v[26:27], v[142:143], -v[146:147]
	s_delay_alu instid0(VALU_DEP_2) | instskip(SKIP_2) | instid1(VALU_DEP_1)
	v_add_f64 v[2:3], v[0:1], v[138:139]
	v_add_f64 v[0:1], v[24:25], v[136:137]
	v_add_f64 v[24:25], v[132:133], -v[136:137]
	v_fma_f64 v[66:67], v[24:25], s[8:9], v[22:23]
	v_fma_f64 v[70:71], v[24:25], s[0:1], v[22:23]
	v_add_f64 v[24:25], v[124:125], v[140:141]
	s_waitcnt vmcnt(0)
	ds_store_b128 v20, v[0:3] offset:9984
	ds_store_b128 v20, v[64:67] offset:11648
	;; [unrolled: 1-line block ×3, first 2 shown]
	v_add_f64 v[0:1], v[140:141], v[144:145]
	s_delay_alu instid0(VALU_DEP_1) | instskip(SKIP_1) | instid1(VALU_DEP_2)
	v_fma_f64 v[20:21], v[0:1], -0.5, v[124:125]
	v_add_f64 v[0:1], v[142:143], v[146:147]
	v_fma_f64 v[64:65], v[26:27], s[0:1], v[20:21]
	v_fma_f64 v[68:69], v[26:27], s[8:9], v[20:21]
	scratch_load_b32 v20, off, off offset:976 ; 4-byte Folded Reload
	v_fma_f64 v[22:23], v[0:1], -0.5, v[126:127]
	v_add_f64 v[0:1], v[126:127], v[142:143]
	v_add_f64 v[26:27], v[150:151], -v[154:155]
	s_delay_alu instid0(VALU_DEP_2) | instskip(SKIP_2) | instid1(VALU_DEP_1)
	v_add_f64 v[2:3], v[0:1], v[146:147]
	v_add_f64 v[0:1], v[24:25], v[144:145]
	v_add_f64 v[24:25], v[140:141], -v[144:145]
	v_fma_f64 v[66:67], v[24:25], s[8:9], v[22:23]
	v_fma_f64 v[70:71], v[24:25], s[0:1], v[22:23]
	v_add_f64 v[24:25], v[128:129], v[148:149]
	s_waitcnt vmcnt(0)
	ds_store_b128 v20, v[0:3] offset:14976
	ds_store_b128 v20, v[64:67] offset:16640
	;; [unrolled: 1-line block ×3, first 2 shown]
	v_add_f64 v[0:1], v[148:149], v[152:153]
	s_delay_alu instid0(VALU_DEP_1) | instskip(SKIP_1) | instid1(VALU_DEP_2)
	v_fma_f64 v[20:21], v[0:1], -0.5, v[128:129]
	v_add_f64 v[0:1], v[150:151], v[154:155]
	v_fma_f64 v[64:65], v[26:27], s[0:1], v[20:21]
	v_fma_f64 v[68:69], v[26:27], s[8:9], v[20:21]
	scratch_load_b32 v20, off, off offset:968 ; 4-byte Folded Reload
	v_fma_f64 v[22:23], v[0:1], -0.5, v[130:131]
	v_add_f64 v[0:1], v[130:131], v[150:151]
	s_delay_alu instid0(VALU_DEP_1) | instskip(SKIP_2) | instid1(VALU_DEP_1)
	v_add_f64 v[2:3], v[0:1], v[154:155]
	v_add_f64 v[0:1], v[24:25], v[152:153]
	v_add_f64 v[24:25], v[148:149], -v[152:153]
	v_fma_f64 v[66:67], v[24:25], s[8:9], v[22:23]
	v_fma_f64 v[70:71], v[24:25], s[0:1], v[22:23]
	s_mov_b32 s0, 0x1a41a41a
	s_mov_b32 s1, 0x3f4a41a4
	s_mul_i32 s8, s4, 0xffffdc40
	s_waitcnt vmcnt(0)
	ds_store_b128 v20, v[0:3] offset:14976
	ds_store_b128 v20, v[64:67] offset:16640
	;; [unrolled: 1-line block ×3, first 2 shown]
	s_waitcnt lgkmcnt(0)
	s_barrier
	buffer_gl0_inv
	ds_load_b128 v[0:3], v240 offset:9984
	ds_load_b128 v[76:79], v240 offset:3328
	;; [unrolled: 1-line block ×10, first 2 shown]
	s_waitcnt lgkmcnt(9)
	v_mul_f64 v[20:21], v[238:239], v[2:3]
	s_delay_alu instid0(VALU_DEP_1) | instskip(SKIP_1) | instid1(VALU_DEP_1)
	v_fma_f64 v[20:21], v[236:237], v[0:1], v[20:21]
	v_mul_f64 v[0:1], v[238:239], v[0:1]
	v_fma_f64 v[22:23], v[236:237], v[2:3], -v[0:1]
	ds_load_b128 v[0:3], v240 offset:14976
	s_waitcnt lgkmcnt(0)
	v_mul_f64 v[24:25], v[238:239], v[2:3]
	s_delay_alu instid0(VALU_DEP_1) | instskip(SKIP_1) | instid1(VALU_DEP_2)
	v_fma_f64 v[24:25], v[236:237], v[0:1], v[24:25]
	v_mul_f64 v[0:1], v[238:239], v[0:1]
	v_add_f64 v[96:97], v[92:93], -v[24:25]
	s_delay_alu instid0(VALU_DEP_2)
	v_fma_f64 v[26:27], v[236:237], v[2:3], -v[0:1]
	ds_load_b128 v[0:3], v240 offset:10816
	s_waitcnt lgkmcnt(0)
	v_mul_f64 v[28:29], v[18:19], v[2:3]
	v_fma_f64 v[92:93], v[92:93], 2.0, -v[96:97]
	v_add_f64 v[98:99], v[94:95], -v[26:27]
	s_delay_alu instid0(VALU_DEP_3) | instskip(SKIP_1) | instid1(VALU_DEP_3)
	v_fma_f64 v[28:29], v[16:17], v[0:1], v[28:29]
	v_mul_f64 v[0:1], v[18:19], v[0:1]
	v_fma_f64 v[94:95], v[94:95], 2.0, -v[98:99]
	s_delay_alu instid0(VALU_DEP_2) | instskip(SKIP_3) | instid1(VALU_DEP_1)
	v_fma_f64 v[30:31], v[16:17], v[2:3], -v[0:1]
	ds_load_b128 v[0:3], v240 offset:15808
	s_waitcnt lgkmcnt(0)
	v_mul_f64 v[32:33], v[18:19], v[2:3]
	v_fma_f64 v[32:33], v[16:17], v[0:1], v[32:33]
	v_mul_f64 v[0:1], v[18:19], v[0:1]
	s_delay_alu instid0(VALU_DEP_2) | instskip(NEXT) | instid1(VALU_DEP_2)
	v_add_f64 v[104:105], v[100:101], -v[32:33]
	v_fma_f64 v[34:35], v[16:17], v[2:3], -v[0:1]
	ds_load_b128 v[0:3], v240 offset:11648
	s_waitcnt lgkmcnt(0)
	v_mul_f64 v[16:17], v[14:15], v[2:3]
	v_fma_f64 v[100:101], v[100:101], 2.0, -v[104:105]
	v_add_f64 v[106:107], v[102:103], -v[34:35]
	s_delay_alu instid0(VALU_DEP_3) | instskip(SKIP_1) | instid1(VALU_DEP_3)
	v_fma_f64 v[36:37], v[12:13], v[0:1], v[16:17]
	v_mul_f64 v[0:1], v[14:15], v[0:1]
	v_fma_f64 v[102:103], v[102:103], 2.0, -v[106:107]
	s_delay_alu instid0(VALU_DEP_2) | instskip(SKIP_3) | instid1(VALU_DEP_1)
	v_fma_f64 v[38:39], v[12:13], v[2:3], -v[0:1]
	ds_load_b128 v[0:3], v240 offset:16640
	s_waitcnt lgkmcnt(0)
	v_mul_f64 v[16:17], v[14:15], v[2:3]
	v_fma_f64 v[40:41], v[12:13], v[0:1], v[16:17]
	v_mul_f64 v[0:1], v[14:15], v[0:1]
	ds_load_b128 v[16:19], v240 offset:1664
	s_waitcnt lgkmcnt(0)
	v_add_f64 v[64:65], v[16:17], -v[36:37]
	v_add_f64 v[66:67], v[18:19], -v[38:39]
	;; [unrolled: 1-line block ×3, first 2 shown]
	v_fma_f64 v[42:43], v[12:13], v[2:3], -v[0:1]
	ds_load_b128 v[0:3], v240 offset:12480
	s_waitcnt lgkmcnt(0)
	v_mul_f64 v[12:13], v[10:11], v[2:3]
	v_fma_f64 v[16:17], v[16:17], 2.0, -v[64:65]
	v_fma_f64 v[18:19], v[18:19], 2.0, -v[66:67]
	;; [unrolled: 1-line block ×3, first 2 shown]
	v_add_f64 v[114:115], v[110:111], -v[42:43]
	v_fma_f64 v[44:45], v[8:9], v[0:1], v[12:13]
	v_mul_f64 v[0:1], v[10:11], v[0:1]
	s_delay_alu instid0(VALU_DEP_3) | instskip(NEXT) | instid1(VALU_DEP_3)
	v_fma_f64 v[110:111], v[110:111], 2.0, -v[114:115]
	v_add_f64 v[72:73], v[68:69], -v[44:45]
	s_delay_alu instid0(VALU_DEP_3)
	v_fma_f64 v[46:47], v[8:9], v[2:3], -v[0:1]
	ds_load_b128 v[0:3], v240 offset:17472
	s_waitcnt lgkmcnt(0)
	v_mul_f64 v[12:13], v[10:11], v[2:3]
	v_fma_f64 v[68:69], v[68:69], 2.0, -v[72:73]
	v_add_f64 v[74:75], v[70:71], -v[46:47]
	s_delay_alu instid0(VALU_DEP_3) | instskip(SKIP_1) | instid1(VALU_DEP_3)
	v_fma_f64 v[120:121], v[8:9], v[0:1], v[12:13]
	v_mul_f64 v[0:1], v[10:11], v[0:1]
	v_fma_f64 v[70:71], v[70:71], 2.0, -v[74:75]
	s_delay_alu instid0(VALU_DEP_3) | instskip(NEXT) | instid1(VALU_DEP_3)
	v_add_f64 v[120:121], v[116:117], -v[120:121]
	v_fma_f64 v[122:123], v[8:9], v[2:3], -v[0:1]
	ds_load_b128 v[0:3], v240 offset:13312
	s_waitcnt lgkmcnt(0)
	v_mul_f64 v[8:9], v[6:7], v[2:3]
	v_fma_f64 v[116:117], v[116:117], 2.0, -v[120:121]
	v_add_f64 v[122:123], v[118:119], -v[122:123]
	s_delay_alu instid0(VALU_DEP_3) | instskip(SKIP_1) | instid1(VALU_DEP_3)
	v_fma_f64 v[80:81], v[4:5], v[0:1], v[8:9]
	v_mul_f64 v[0:1], v[6:7], v[0:1]
	v_fma_f64 v[118:119], v[118:119], 2.0, -v[122:123]
	s_delay_alu instid0(VALU_DEP_3) | instskip(NEXT) | instid1(VALU_DEP_3)
	v_add_f64 v[80:81], v[76:77], -v[80:81]
	v_fma_f64 v[82:83], v[4:5], v[2:3], -v[0:1]
	ds_load_b128 v[0:3], v240 offset:18304
	s_waitcnt lgkmcnt(0)
	v_mul_f64 v[8:9], v[6:7], v[2:3]
	v_fma_f64 v[76:77], v[76:77], 2.0, -v[80:81]
	v_add_f64 v[82:83], v[78:79], -v[82:83]
	s_delay_alu instid0(VALU_DEP_3)
	v_fma_f64 v[128:129], v[4:5], v[0:1], v[8:9]
	v_mul_f64 v[0:1], v[6:7], v[0:1]
	ds_load_b128 v[8:11], v240 offset:832
	v_fma_f64 v[78:79], v[78:79], 2.0, -v[82:83]
	s_waitcnt lgkmcnt(0)
	v_add_f64 v[12:13], v[8:9], -v[28:29]
	v_add_f64 v[14:15], v[10:11], -v[30:31]
	v_add_f64 v[128:129], v[124:125], -v[128:129]
	v_fma_f64 v[130:131], v[4:5], v[2:3], -v[0:1]
	ds_load_b128 v[0:3], v240 offset:14144
	s_waitcnt lgkmcnt(0)
	v_mul_f64 v[4:5], v[254:255], v[2:3]
	v_fma_f64 v[8:9], v[8:9], 2.0, -v[12:13]
	v_fma_f64 v[10:11], v[10:11], 2.0, -v[14:15]
	v_fma_f64 v[124:125], v[124:125], 2.0, -v[128:129]
	v_add_f64 v[130:131], v[126:127], -v[130:131]
	v_fma_f64 v[88:89], v[252:253], v[0:1], v[4:5]
	v_mul_f64 v[0:1], v[254:255], v[0:1]
	s_delay_alu instid0(VALU_DEP_3) | instskip(NEXT) | instid1(VALU_DEP_3)
	v_fma_f64 v[126:127], v[126:127], 2.0, -v[130:131]
	v_add_f64 v[88:89], v[84:85], -v[88:89]
	s_delay_alu instid0(VALU_DEP_3)
	v_fma_f64 v[90:91], v[252:253], v[2:3], -v[0:1]
	ds_load_b128 v[0:3], v240 offset:19136
	s_waitcnt lgkmcnt(0)
	v_mul_f64 v[4:5], v[254:255], v[2:3]
	v_fma_f64 v[84:85], v[84:85], 2.0, -v[88:89]
	v_add_f64 v[90:91], v[86:87], -v[90:91]
	s_delay_alu instid0(VALU_DEP_3) | instskip(SKIP_1) | instid1(VALU_DEP_3)
	v_fma_f64 v[136:137], v[252:253], v[0:1], v[4:5]
	v_mul_f64 v[0:1], v[254:255], v[0:1]
	v_fma_f64 v[86:87], v[86:87], 2.0, -v[90:91]
	s_delay_alu instid0(VALU_DEP_3) | instskip(NEXT) | instid1(VALU_DEP_3)
	v_add_f64 v[136:137], v[132:133], -v[136:137]
	v_fma_f64 v[138:139], v[252:253], v[2:3], -v[0:1]
	ds_load_b128 v[0:3], v240
	s_waitcnt lgkmcnt(0)
	s_barrier
	buffer_gl0_inv
	v_add_f64 v[4:5], v[0:1], -v[20:21]
	v_add_f64 v[6:7], v[2:3], -v[22:23]
	v_fma_f64 v[132:133], v[132:133], 2.0, -v[136:137]
	v_add_f64 v[138:139], v[134:135], -v[138:139]
	s_delay_alu instid0(VALU_DEP_4) | instskip(NEXT) | instid1(VALU_DEP_4)
	v_fma_f64 v[0:1], v[0:1], 2.0, -v[4:5]
	v_fma_f64 v[2:3], v[2:3], 2.0, -v[6:7]
	s_delay_alu instid0(VALU_DEP_3)
	v_fma_f64 v[134:135], v[134:135], 2.0, -v[138:139]
	ds_store_b128 v240, v[4:7] offset:4992
	ds_store_b128 v240, v[12:15] offset:5824
	;; [unrolled: 1-line block ×12, first 2 shown]
	ds_store_b128 v240, v[0:3]
	ds_store_b128 v240, v[8:11] offset:832
	ds_store_b128 v240, v[16:19] offset:1664
	;; [unrolled: 1-line block ×11, first 2 shown]
	s_waitcnt lgkmcnt(0)
	s_barrier
	buffer_gl0_inv
	s_clause 0x1
	scratch_load_b128 v[10:13], off, off offset:744
	scratch_load_b128 v[14:17], off, off offset:844
	ds_load_b128 v[0:3], v240 offset:9984
	ds_load_b128 v[32:35], v240 offset:3328
	;; [unrolled: 1-line block ×6, first 2 shown]
	s_waitcnt vmcnt(1) lgkmcnt(5)
	v_mul_f64 v[4:5], v[12:13], v[2:3]
	s_delay_alu instid0(VALU_DEP_1) | instskip(SKIP_1) | instid1(VALU_DEP_1)
	v_fma_f64 v[8:9], v[10:11], v[0:1], v[4:5]
	v_mul_f64 v[0:1], v[12:13], v[0:1]
	v_fma_f64 v[10:11], v[10:11], v[2:3], -v[0:1]
	ds_load_b128 v[0:3], v240 offset:10816
	s_waitcnt vmcnt(0) lgkmcnt(0)
	v_mul_f64 v[4:5], v[16:17], v[2:3]
	s_delay_alu instid0(VALU_DEP_1)
	v_fma_f64 v[12:13], v[14:15], v[0:1], v[4:5]
	v_mul_f64 v[0:1], v[16:17], v[0:1]
	scratch_load_b128 v[16:19], off, off offset:860 ; 16-byte Folded Reload
	v_fma_f64 v[14:15], v[14:15], v[2:3], -v[0:1]
	ds_load_b128 v[0:3], v240 offset:11648
	s_waitcnt vmcnt(0) lgkmcnt(0)
	v_mul_f64 v[4:5], v[18:19], v[2:3]
	s_delay_alu instid0(VALU_DEP_1) | instskip(SKIP_1) | instid1(VALU_DEP_1)
	v_fma_f64 v[20:21], v[16:17], v[0:1], v[4:5]
	v_mul_f64 v[0:1], v[18:19], v[0:1]
	v_fma_f64 v[22:23], v[16:17], v[2:3], -v[0:1]
	scratch_load_b128 v[16:19], off, off offset:876 ; 16-byte Folded Reload
	ds_load_b128 v[0:3], v240 offset:12480
	s_waitcnt vmcnt(0) lgkmcnt(0)
	v_mul_f64 v[4:5], v[18:19], v[2:3]
	s_delay_alu instid0(VALU_DEP_1) | instskip(SKIP_1) | instid1(VALU_DEP_2)
	v_fma_f64 v[28:29], v[16:17], v[0:1], v[4:5]
	v_mul_f64 v[0:1], v[18:19], v[0:1]
	v_add_f64 v[28:29], v[24:25], -v[28:29]
	s_delay_alu instid0(VALU_DEP_2) | instskip(SKIP_4) | instid1(VALU_DEP_1)
	v_fma_f64 v[30:31], v[16:17], v[2:3], -v[0:1]
	scratch_load_b128 v[16:19], off, off offset:896 ; 16-byte Folded Reload
	ds_load_b128 v[0:3], v240 offset:13312
	v_fma_f64 v[24:25], v[24:25], 2.0, -v[28:29]
	v_add_f64 v[30:31], v[26:27], -v[30:31]
	v_fma_f64 v[26:27], v[26:27], 2.0, -v[30:31]
	s_waitcnt vmcnt(0) lgkmcnt(0)
	v_mul_f64 v[4:5], v[18:19], v[2:3]
	s_delay_alu instid0(VALU_DEP_1) | instskip(SKIP_1) | instid1(VALU_DEP_2)
	v_fma_f64 v[36:37], v[16:17], v[0:1], v[4:5]
	v_mul_f64 v[0:1], v[18:19], v[0:1]
	v_add_f64 v[36:37], v[32:33], -v[36:37]
	s_delay_alu instid0(VALU_DEP_2) | instskip(SKIP_4) | instid1(VALU_DEP_1)
	v_fma_f64 v[38:39], v[16:17], v[2:3], -v[0:1]
	scratch_load_b128 v[16:19], off, off offset:912 ; 16-byte Folded Reload
	ds_load_b128 v[0:3], v240 offset:14144
	v_fma_f64 v[32:33], v[32:33], 2.0, -v[36:37]
	v_add_f64 v[38:39], v[34:35], -v[38:39]
	v_fma_f64 v[34:35], v[34:35], 2.0, -v[38:39]
	;; [unrolled: 13-line block ×3, first 2 shown]
	s_waitcnt vmcnt(0) lgkmcnt(0)
	v_mul_f64 v[4:5], v[18:19], v[2:3]
	s_delay_alu instid0(VALU_DEP_1) | instskip(SKIP_1) | instid1(VALU_DEP_1)
	v_fma_f64 v[64:65], v[16:17], v[0:1], v[4:5]
	v_mul_f64 v[0:1], v[18:19], v[0:1]
	v_fma_f64 v[66:67], v[16:17], v[2:3], -v[0:1]
	scratch_load_b128 v[16:19], off, off offset:944 ; 16-byte Folded Reload
	ds_load_b128 v[0:3], v240 offset:15808
	s_waitcnt vmcnt(0) lgkmcnt(0)
	v_mul_f64 v[4:5], v[18:19], v[2:3]
	s_delay_alu instid0(VALU_DEP_1) | instskip(SKIP_1) | instid1(VALU_DEP_1)
	v_fma_f64 v[68:69], v[16:17], v[0:1], v[4:5]
	v_mul_f64 v[0:1], v[18:19], v[0:1]
	v_fma_f64 v[70:71], v[16:17], v[2:3], -v[0:1]
	ds_load_b128 v[0:3], v240 offset:16640
	ds_load_b128 v[16:19], v240 offset:1664
	s_waitcnt lgkmcnt(1)
	v_mul_f64 v[4:5], v[50:51], v[2:3]
	s_waitcnt lgkmcnt(0)
	v_add_f64 v[20:21], v[16:17], -v[20:21]
	v_add_f64 v[22:23], v[18:19], -v[22:23]
	s_delay_alu instid0(VALU_DEP_3) | instskip(SKIP_1) | instid1(VALU_DEP_4)
	v_fma_f64 v[72:73], v[48:49], v[0:1], v[4:5]
	v_mul_f64 v[0:1], v[50:51], v[0:1]
	v_fma_f64 v[16:17], v[16:17], 2.0, -v[20:21]
	s_delay_alu instid0(VALU_DEP_4) | instskip(NEXT) | instid1(VALU_DEP_3)
	v_fma_f64 v[18:19], v[18:19], 2.0, -v[22:23]
	v_fma_f64 v[74:75], v[48:49], v[2:3], -v[0:1]
	ds_load_b128 v[0:3], v240 offset:17472
	ds_load_b128 v[48:51], v240 offset:4992
	s_waitcnt lgkmcnt(1)
	v_mul_f64 v[4:5], v[54:55], v[2:3]
	s_delay_alu instid0(VALU_DEP_1) | instskip(SKIP_1) | instid1(VALU_DEP_1)
	v_fma_f64 v[76:77], v[52:53], v[0:1], v[4:5]
	v_mul_f64 v[0:1], v[54:55], v[0:1]
	v_fma_f64 v[78:79], v[52:53], v[2:3], -v[0:1]
	ds_load_b128 v[0:3], v240 offset:18304
	s_waitcnt lgkmcnt(0)
	v_mul_f64 v[4:5], v[58:59], v[2:3]
	s_delay_alu instid0(VALU_DEP_1) | instskip(SKIP_1) | instid1(VALU_DEP_2)
	v_fma_f64 v[84:85], v[56:57], v[0:1], v[4:5]
	v_mul_f64 v[0:1], v[58:59], v[0:1]
	v_add_f64 v[84:85], v[80:81], -v[84:85]
	s_delay_alu instid0(VALU_DEP_2)
	v_fma_f64 v[86:87], v[56:57], v[2:3], -v[0:1]
	ds_load_b128 v[56:59], v240 offset:5824
	ds_load_b128 v[0:3], v240 offset:19136
	v_add_f64 v[52:53], v[48:49], -v[64:65]
	v_add_f64 v[54:55], v[50:51], -v[66:67]
	ds_load_b128 v[64:67], v240 offset:6656
	s_waitcnt lgkmcnt(1)
	v_mul_f64 v[4:5], v[62:63], v[2:3]
	v_fma_f64 v[80:81], v[80:81], 2.0, -v[84:85]
	v_add_f64 v[86:87], v[82:83], -v[86:87]
	v_fma_f64 v[48:49], v[48:49], 2.0, -v[52:53]
	v_fma_f64 v[50:51], v[50:51], 2.0, -v[54:55]
	v_fma_f64 v[92:93], v[60:61], v[0:1], v[4:5]
	v_mul_f64 v[0:1], v[62:63], v[0:1]
	ds_load_b128 v[4:7], v240
	v_add_f64 v[62:63], v[58:59], -v[70:71]
	s_waitcnt lgkmcnt(1)
	v_add_f64 v[70:71], v[66:67], -v[74:75]
	v_fma_f64 v[82:83], v[82:83], 2.0, -v[86:87]
	v_add_f64 v[92:93], v[88:89], -v[92:93]
	v_fma_f64 v[94:95], v[60:61], v[2:3], -v[0:1]
	s_waitcnt lgkmcnt(0)
	v_add_f64 v[0:1], v[4:5], -v[8:9]
	v_add_f64 v[2:3], v[6:7], -v[10:11]
	ds_load_b128 v[8:11], v240 offset:832
	v_add_f64 v[60:61], v[56:57], -v[68:69]
	v_add_f64 v[68:69], v[64:65], -v[72:73]
	ds_load_b128 v[72:75], v240 offset:7488
	v_fma_f64 v[58:59], v[58:59], 2.0, -v[62:63]
	v_fma_f64 v[66:67], v[66:67], 2.0, -v[70:71]
	s_waitcnt lgkmcnt(1)
	v_add_f64 v[12:13], v[8:9], -v[12:13]
	v_add_f64 v[14:15], v[10:11], -v[14:15]
	s_waitcnt lgkmcnt(0)
	v_add_f64 v[76:77], v[72:73], -v[76:77]
	v_add_f64 v[78:79], v[74:75], -v[78:79]
	v_fma_f64 v[88:89], v[88:89], 2.0, -v[92:93]
	v_add_f64 v[94:95], v[90:91], -v[94:95]
	v_fma_f64 v[4:5], v[4:5], 2.0, -v[0:1]
	v_fma_f64 v[6:7], v[6:7], 2.0, -v[2:3]
	;; [unrolled: 1-line block ×9, first 2 shown]
	ds_store_b128 v240, v[0:3] offset:9984
	ds_store_b128 v240, v[12:15] offset:10816
	;; [unrolled: 1-line block ×12, first 2 shown]
	ds_store_b128 v240, v[4:7]
	ds_store_b128 v240, v[8:11] offset:832
	ds_store_b128 v240, v[16:19] offset:1664
	;; [unrolled: 1-line block ×11, first 2 shown]
	s_waitcnt lgkmcnt(0)
	s_barrier
	buffer_gl0_inv
	s_clause 0x3
	scratch_load_b128 v[6:9], off, off offset:276
	scratch_load_b128 v[14:17], off, off offset:260
	;; [unrolled: 1-line block ×4, first 2 shown]
	ds_load_b128 v[0:3], v240
	s_clause 0x13
	scratch_load_b128 v[22:25], off, off offset:228
	scratch_load_b128 v[90:93], off, off offset:244
	;; [unrolled: 1-line block ×19, first 2 shown]
	scratch_load_b32 v98, off, off
	s_waitcnt vmcnt(23) lgkmcnt(0)
	v_mul_f64 v[4:5], v[8:9], v[2:3]
	s_delay_alu instid0(VALU_DEP_1) | instskip(SKIP_1) | instid1(VALU_DEP_1)
	v_fma_f64 v[4:5], v[6:7], v[0:1], v[4:5]
	v_mul_f64 v[0:1], v[8:9], v[0:1]
	v_fma_f64 v[6:7], v[6:7], v[2:3], -v[0:1]
	ds_load_b128 v[0:3], v240 offset:9984
	s_waitcnt vmcnt(21) lgkmcnt(0)
	v_mul_f64 v[8:9], v[12:13], v[2:3]
	s_delay_alu instid0(VALU_DEP_1) | instskip(SKIP_1) | instid1(VALU_DEP_1)
	v_fma_f64 v[8:9], v[10:11], v[0:1], v[8:9]
	v_mul_f64 v[0:1], v[12:13], v[0:1]
	v_fma_f64 v[10:11], v[10:11], v[2:3], -v[0:1]
	ds_load_b128 v[0:3], v240 offset:832
	s_waitcnt lgkmcnt(0)
	v_mul_f64 v[12:13], v[16:17], v[2:3]
	s_delay_alu instid0(VALU_DEP_1) | instskip(SKIP_1) | instid1(VALU_DEP_1)
	v_fma_f64 v[12:13], v[14:15], v[0:1], v[12:13]
	v_mul_f64 v[0:1], v[16:17], v[0:1]
	v_fma_f64 v[14:15], v[14:15], v[2:3], -v[0:1]
	ds_load_b128 v[0:3], v240 offset:10816
	s_waitcnt vmcnt(20) lgkmcnt(0)
	v_mul_f64 v[16:17], v[20:21], v[2:3]
	s_delay_alu instid0(VALU_DEP_1) | instskip(SKIP_1) | instid1(VALU_DEP_1)
	v_fma_f64 v[16:17], v[18:19], v[0:1], v[16:17]
	v_mul_f64 v[0:1], v[20:21], v[0:1]
	v_fma_f64 v[18:19], v[18:19], v[2:3], -v[0:1]
	ds_load_b128 v[0:3], v240 offset:1664
	s_waitcnt vmcnt(19) lgkmcnt(0)
	;; [unrolled: 7-line block ×6, first 2 shown]
	v_mul_f64 v[36:37], v[40:41], v[2:3]
	s_delay_alu instid0(VALU_DEP_1) | instskip(SKIP_1) | instid1(VALU_DEP_1)
	v_fma_f64 v[36:37], v[38:39], v[0:1], v[36:37]
	v_mul_f64 v[0:1], v[40:41], v[0:1]
	v_fma_f64 v[38:39], v[38:39], v[2:3], -v[0:1]
	ds_load_b128 v[0:3], v240 offset:13312
	s_waitcnt lgkmcnt(0)
	v_mul_f64 v[40:41], v[44:45], v[2:3]
	s_delay_alu instid0(VALU_DEP_1) | instskip(SKIP_1) | instid1(VALU_DEP_1)
	v_fma_f64 v[40:41], v[42:43], v[0:1], v[40:41]
	v_mul_f64 v[0:1], v[44:45], v[0:1]
	v_fma_f64 v[42:43], v[42:43], v[2:3], -v[0:1]
	ds_load_b128 v[0:3], v240 offset:4160
	s_waitcnt vmcnt(10) lgkmcnt(0)
	v_mul_f64 v[44:45], v[48:49], v[2:3]
	s_delay_alu instid0(VALU_DEP_1) | instskip(SKIP_1) | instid1(VALU_DEP_1)
	v_fma_f64 v[44:45], v[46:47], v[0:1], v[44:45]
	v_mul_f64 v[0:1], v[48:49], v[0:1]
	v_fma_f64 v[46:47], v[46:47], v[2:3], -v[0:1]
	ds_load_b128 v[0:3], v240 offset:14144
	s_waitcnt vmcnt(8) lgkmcnt(0)
	v_mul_f64 v[48:49], v[52:53], v[2:3]
	s_delay_alu instid0(VALU_DEP_1) | instskip(SKIP_1) | instid1(VALU_DEP_1)
	v_fma_f64 v[48:49], v[50:51], v[0:1], v[48:49]
	v_mul_f64 v[0:1], v[52:53], v[0:1]
	v_fma_f64 v[50:51], v[50:51], v[2:3], -v[0:1]
	ds_load_b128 v[0:3], v240 offset:4992
	s_waitcnt lgkmcnt(0)
	v_mul_f64 v[52:53], v[56:57], v[2:3]
	s_delay_alu instid0(VALU_DEP_1) | instskip(SKIP_1) | instid1(VALU_DEP_1)
	v_fma_f64 v[52:53], v[54:55], v[0:1], v[52:53]
	v_mul_f64 v[0:1], v[56:57], v[0:1]
	v_fma_f64 v[54:55], v[54:55], v[2:3], -v[0:1]
	ds_load_b128 v[0:3], v240 offset:14976
	s_waitcnt vmcnt(6) lgkmcnt(0)
	v_mul_f64 v[56:57], v[60:61], v[2:3]
	s_delay_alu instid0(VALU_DEP_1) | instskip(SKIP_1) | instid1(VALU_DEP_1)
	v_fma_f64 v[56:57], v[58:59], v[0:1], v[56:57]
	v_mul_f64 v[0:1], v[60:61], v[0:1]
	v_fma_f64 v[58:59], v[58:59], v[2:3], -v[0:1]
	ds_load_b128 v[0:3], v240 offset:5824
	s_waitcnt lgkmcnt(0)
	v_mul_f64 v[60:61], v[64:65], v[2:3]
	s_delay_alu instid0(VALU_DEP_1) | instskip(SKIP_1) | instid1(VALU_DEP_1)
	v_fma_f64 v[60:61], v[62:63], v[0:1], v[60:61]
	v_mul_f64 v[0:1], v[64:65], v[0:1]
	v_fma_f64 v[62:63], v[62:63], v[2:3], -v[0:1]
	ds_load_b128 v[0:3], v240 offset:15808
	s_waitcnt vmcnt(4) lgkmcnt(0)
	v_mul_f64 v[64:65], v[68:69], v[2:3]
	s_delay_alu instid0(VALU_DEP_1) | instskip(SKIP_1) | instid1(VALU_DEP_1)
	v_fma_f64 v[64:65], v[66:67], v[0:1], v[64:65]
	v_mul_f64 v[0:1], v[68:69], v[0:1]
	v_fma_f64 v[66:67], v[66:67], v[2:3], -v[0:1]
	ds_load_b128 v[0:3], v240 offset:6656
	s_waitcnt vmcnt(3) lgkmcnt(0)
	;; [unrolled: 7-line block ×3, first 2 shown]
	v_mul_f64 v[72:73], v[76:77], v[2:3]
	s_delay_alu instid0(VALU_DEP_1) | instskip(SKIP_1) | instid1(VALU_DEP_1)
	v_fma_f64 v[72:73], v[74:75], v[0:1], v[72:73]
	v_mul_f64 v[0:1], v[76:77], v[0:1]
	v_fma_f64 v[74:75], v[74:75], v[2:3], -v[0:1]
	ds_load_b128 v[0:3], v240 offset:7488
	s_waitcnt lgkmcnt(0)
	v_mul_f64 v[76:77], v[80:81], v[2:3]
	s_delay_alu instid0(VALU_DEP_1) | instskip(SKIP_1) | instid1(VALU_DEP_1)
	v_fma_f64 v[76:77], v[78:79], v[0:1], v[76:77]
	v_mul_f64 v[0:1], v[80:81], v[0:1]
	v_fma_f64 v[78:79], v[78:79], v[2:3], -v[0:1]
	ds_load_b128 v[0:3], v240 offset:17472
	s_waitcnt vmcnt(1) lgkmcnt(0)
	v_mul_f64 v[80:81], v[84:85], v[2:3]
	s_delay_alu instid0(VALU_DEP_1) | instskip(SKIP_1) | instid1(VALU_DEP_1)
	v_fma_f64 v[80:81], v[82:83], v[0:1], v[80:81]
	v_mul_f64 v[0:1], v[84:85], v[0:1]
	v_fma_f64 v[82:83], v[82:83], v[2:3], -v[0:1]
	ds_load_b128 v[0:3], v240 offset:8320
	s_waitcnt lgkmcnt(0)
	v_mul_f64 v[84:85], v[88:89], v[2:3]
	s_delay_alu instid0(VALU_DEP_1) | instskip(SKIP_1) | instid1(VALU_DEP_1)
	v_fma_f64 v[84:85], v[86:87], v[0:1], v[84:85]
	v_mul_f64 v[0:1], v[88:89], v[0:1]
	v_fma_f64 v[86:87], v[86:87], v[2:3], -v[0:1]
	ds_load_b128 v[0:3], v240 offset:18304
	s_waitcnt lgkmcnt(0)
	;; [unrolled: 7-line block ×3, first 2 shown]
	v_mul_f64 v[92:93], v[96:97], v[2:3]
	s_delay_alu instid0(VALU_DEP_1) | instskip(SKIP_1) | instid1(VALU_DEP_1)
	v_fma_f64 v[92:93], v[94:95], v[0:1], v[92:93]
	v_mul_f64 v[0:1], v[96:97], v[0:1]
	v_fma_f64 v[94:95], v[94:95], v[2:3], -v[0:1]
	scratch_load_b64 v[0:1], off, off offset:40 ; 8-byte Folded Reload
	s_waitcnt vmcnt(0)
	v_mov_b32_e32 v3, v0
	s_delay_alu instid0(VALU_DEP_1) | instskip(SKIP_1) | instid1(VALU_DEP_1)
	v_mad_u64_u32 v[96:97], null, s6, v3, 0
	s_mul_i32 s6, s4, 0x2700
	v_mov_b32_e32 v0, v97
	s_delay_alu instid0(VALU_DEP_1) | instskip(SKIP_2) | instid1(VALU_DEP_2)
	v_mad_u64_u32 v[1:2], null, s7, v3, v[0:1]
	v_mul_f64 v[2:3], v[6:7], s[0:1]
	s_mul_i32 s7, s5, 0xffffdc40
	v_mov_b32_e32 v97, v1
	v_mul_f64 v[0:1], v[4:5], s[0:1]
	v_mad_u64_u32 v[4:5], null, s4, v98, 0
	s_delay_alu instid0(VALU_DEP_1) | instskip(NEXT) | instid1(VALU_DEP_1)
	v_mad_u64_u32 v[6:7], null, s5, v98, v[5:6]
	v_mov_b32_e32 v5, v6
	v_lshlrev_b64 v[6:7], 4, v[96:97]
	s_delay_alu instid0(VALU_DEP_2) | instskip(NEXT) | instid1(VALU_DEP_2)
	v_lshlrev_b64 v[4:5], 4, v[4:5]
	v_add_co_u32 v6, vcc_lo, s2, v6
	s_delay_alu instid0(VALU_DEP_3) | instskip(SKIP_1) | instid1(VALU_DEP_2)
	v_add_co_ci_u32_e32 v7, vcc_lo, s3, v7, vcc_lo
	s_mul_i32 s2, s5, 0x2700
	v_add_co_u32 v4, vcc_lo, v6, v4
	s_delay_alu instid0(VALU_DEP_2) | instskip(SKIP_1) | instid1(SALU_CYCLE_1)
	v_add_co_ci_u32_e32 v5, vcc_lo, v7, v5, vcc_lo
	s_mul_hi_u32 s3, s4, 0x2700
	s_add_i32 s3, s3, s2
	s_mul_hi_u32 s2, s4, 0xffffdc40
	global_store_b128 v[4:5], v[0:3], off
	v_mul_f64 v[0:1], v[8:9], s[0:1]
	scratch_load_b32 v8, off, off offset:48 ; 4-byte Folded Reload
	v_mul_f64 v[2:3], v[10:11], s[0:1]
	v_add_co_u32 v4, vcc_lo, v4, s6
	v_add_co_ci_u32_e32 v5, vcc_lo, s3, v5, vcc_lo
	s_sub_i32 s2, s2, s4
	s_delay_alu instid0(SALU_CYCLE_1)
	s_add_i32 s2, s2, s7
	global_store_b128 v[4:5], v[0:3], off
	v_mul_f64 v[0:1], v[12:13], s[0:1]
	v_mul_f64 v[2:3], v[14:15], s[0:1]
	v_add_co_u32 v4, vcc_lo, v4, s8
	v_add_co_ci_u32_e32 v5, vcc_lo, s2, v5, vcc_lo
	global_store_b128 v[4:5], v[0:3], off
	v_mul_f64 v[0:1], v[16:17], s[0:1]
	v_mul_f64 v[2:3], v[18:19], s[0:1]
	scratch_load_b128 v[16:19], off, off offset:212 ; 16-byte Folded Reload
	v_add_co_u32 v4, vcc_lo, v4, s6
	v_add_co_ci_u32_e32 v5, vcc_lo, s3, v5, vcc_lo
	global_store_b128 v[4:5], v[0:3], off
	v_mul_f64 v[0:1], v[20:21], s[0:1]
	v_mul_f64 v[2:3], v[22:23], s[0:1]
	v_add_co_u32 v4, vcc_lo, v4, s8
	v_add_co_ci_u32_e32 v5, vcc_lo, s2, v5, vcc_lo
	v_mul_f64 v[20:21], v[76:77], s[0:1]
	v_mul_f64 v[22:23], v[78:79], s[0:1]
	global_store_b128 v[4:5], v[0:3], off
	v_mul_f64 v[0:1], v[24:25], s[0:1]
	v_mul_f64 v[2:3], v[26:27], s[0:1]
	v_add_co_u32 v4, vcc_lo, v4, s6
	v_add_co_ci_u32_e32 v5, vcc_lo, s3, v5, vcc_lo
	v_mul_f64 v[24:25], v[80:81], s[0:1]
	v_mul_f64 v[26:27], v[82:83], s[0:1]
	;; [unrolled: 7-line block ×5, first 2 shown]
	global_store_b128 v[4:5], v[0:3], off
	s_waitcnt vmcnt(1)
	v_mad_u64_u32 v[0:1], null, s4, v8, 0
	s_delay_alu instid0(VALU_DEP_1) | instskip(SKIP_2) | instid1(VALU_DEP_3)
	v_mad_u64_u32 v[2:3], null, s5, v8, v[1:2]
	v_mad_u64_u32 v[8:9], null, 0x340, s4, v[4:5]
	v_mul_f64 v[4:5], v[48:49], s[0:1]
	v_mov_b32_e32 v1, v2
	v_mul_f64 v[2:3], v[42:43], s[0:1]
	s_delay_alu instid0(VALU_DEP_4) | instskip(NEXT) | instid1(VALU_DEP_3)
	v_mad_u64_u32 v[10:11], null, 0x340, s5, v[9:10]
	v_lshlrev_b64 v[0:1], 4, v[0:1]
	s_delay_alu instid0(VALU_DEP_2) | instskip(NEXT) | instid1(VALU_DEP_2)
	v_mov_b32_e32 v9, v10
	v_add_co_u32 v6, vcc_lo, v6, v0
	s_delay_alu instid0(VALU_DEP_3)
	v_add_co_ci_u32_e32 v7, vcc_lo, v7, v1, vcc_lo
	v_mul_f64 v[0:1], v[40:41], s[0:1]
	v_add_co_u32 v12, vcc_lo, v8, s6
	v_add_co_ci_u32_e32 v13, vcc_lo, s3, v9, vcc_lo
	v_mul_f64 v[10:11], v[54:55], s[0:1]
	global_store_b128 v[6:7], v[0:3], off
	v_mul_f64 v[0:1], v[44:45], s[0:1]
	v_mul_f64 v[2:3], v[46:47], s[0:1]
	;; [unrolled: 1-line block ×3, first 2 shown]
	global_store_b128 v[8:9], v[0:3], off
	ds_load_b128 v[0:3], v240 offset:19136
	global_store_b128 v[12:13], v[4:7], off
	v_mul_f64 v[8:9], v[52:53], s[0:1]
	v_add_co_u32 v6, vcc_lo, v12, s8
	v_add_co_ci_u32_e32 v7, vcc_lo, s2, v13, vcc_lo
	v_mul_f64 v[12:13], v[68:69], s[0:1]
	s_delay_alu instid0(VALU_DEP_3) | instskip(NEXT) | instid1(VALU_DEP_3)
	v_add_co_u32 v44, vcc_lo, v6, s6
	v_add_co_ci_u32_e32 v45, vcc_lo, s3, v7, vcc_lo
	s_delay_alu instid0(VALU_DEP_2) | instskip(NEXT) | instid1(VALU_DEP_2)
	v_add_co_u32 v46, vcc_lo, v44, s8
	v_add_co_ci_u32_e32 v47, vcc_lo, s2, v45, vcc_lo
	s_delay_alu instid0(VALU_DEP_2)
	v_add_co_u32 v48, vcc_lo, v46, s6
	s_waitcnt vmcnt(0) lgkmcnt(0)
	v_mul_f64 v[14:15], v[18:19], v[2:3]
	v_mul_f64 v[4:5], v[18:19], v[0:1]
	v_add_co_ci_u32_e32 v49, vcc_lo, s3, v47, vcc_lo
	v_mul_f64 v[18:19], v[74:75], s[0:1]
	v_add_co_u32 v50, vcc_lo, v48, s8
	s_delay_alu instid0(VALU_DEP_3) | instskip(NEXT) | instid1(VALU_DEP_2)
	v_add_co_ci_u32_e32 v51, vcc_lo, s2, v49, vcc_lo
	v_add_co_u32 v52, vcc_lo, v50, s6
	s_delay_alu instid0(VALU_DEP_2)
	v_add_co_ci_u32_e32 v53, vcc_lo, s3, v51, vcc_lo
	global_store_b128 v[6:7], v[8:11], off
	v_mul_f64 v[6:7], v[62:63], s[0:1]
	v_mul_f64 v[8:9], v[64:65], s[0:1]
	;; [unrolled: 1-line block ×3, first 2 shown]
	v_fma_f64 v[40:41], v[16:17], v[0:1], v[14:15]
	v_fma_f64 v[42:43], v[16:17], v[2:3], -v[4:5]
	v_mul_f64 v[0:1], v[56:57], s[0:1]
	v_mul_f64 v[2:3], v[58:59], s[0:1]
	;; [unrolled: 1-line block ×7, first 2 shown]
	global_store_b128 v[44:45], v[0:3], off
	v_add_co_u32 v0, vcc_lo, v52, s8
	v_add_co_ci_u32_e32 v1, vcc_lo, s2, v53, vcc_lo
	global_store_b128 v[46:47], v[4:7], off
	v_add_co_u32 v2, vcc_lo, v0, s6
	v_add_co_ci_u32_e32 v3, vcc_lo, s3, v1, vcc_lo
	;; [unrolled: 3-line block ×6, first 2 shown]
	global_store_b128 v[2:3], v[24:27], off
	global_store_b128 v[4:5], v[28:31], off
	;; [unrolled: 1-line block ×5, first 2 shown]
.LBB0_10:
	s_nop 0
	s_sendmsg sendmsg(MSG_DEALLOC_VGPRS)
	s_endpgm
	.section	.rodata,"a",@progbits
	.p2align	6, 0x0
	.amdhsa_kernel bluestein_single_fwd_len1248_dim1_dp_op_CI_CI
		.amdhsa_group_segment_fixed_size 19968
		.amdhsa_private_segment_fixed_size 1080
		.amdhsa_kernarg_size 104
		.amdhsa_user_sgpr_count 15
		.amdhsa_user_sgpr_dispatch_ptr 0
		.amdhsa_user_sgpr_queue_ptr 0
		.amdhsa_user_sgpr_kernarg_segment_ptr 1
		.amdhsa_user_sgpr_dispatch_id 0
		.amdhsa_user_sgpr_private_segment_size 0
		.amdhsa_wavefront_size32 1
		.amdhsa_uses_dynamic_stack 0
		.amdhsa_enable_private_segment 1
		.amdhsa_system_sgpr_workgroup_id_x 1
		.amdhsa_system_sgpr_workgroup_id_y 0
		.amdhsa_system_sgpr_workgroup_id_z 0
		.amdhsa_system_sgpr_workgroup_info 0
		.amdhsa_system_vgpr_workitem_id 0
		.amdhsa_next_free_vgpr 256
		.amdhsa_next_free_sgpr 48
		.amdhsa_reserve_vcc 1
		.amdhsa_float_round_mode_32 0
		.amdhsa_float_round_mode_16_64 0
		.amdhsa_float_denorm_mode_32 3
		.amdhsa_float_denorm_mode_16_64 3
		.amdhsa_dx10_clamp 1
		.amdhsa_ieee_mode 1
		.amdhsa_fp16_overflow 0
		.amdhsa_workgroup_processor_mode 1
		.amdhsa_memory_ordered 1
		.amdhsa_forward_progress 0
		.amdhsa_shared_vgpr_count 0
		.amdhsa_exception_fp_ieee_invalid_op 0
		.amdhsa_exception_fp_denorm_src 0
		.amdhsa_exception_fp_ieee_div_zero 0
		.amdhsa_exception_fp_ieee_overflow 0
		.amdhsa_exception_fp_ieee_underflow 0
		.amdhsa_exception_fp_ieee_inexact 0
		.amdhsa_exception_int_div_zero 0
	.end_amdhsa_kernel
	.text
.Lfunc_end0:
	.size	bluestein_single_fwd_len1248_dim1_dp_op_CI_CI, .Lfunc_end0-bluestein_single_fwd_len1248_dim1_dp_op_CI_CI
                                        ; -- End function
	.section	.AMDGPU.csdata,"",@progbits
; Kernel info:
; codeLenInByte = 44804
; NumSgprs: 50
; NumVgprs: 256
; ScratchSize: 1080
; MemoryBound: 0
; FloatMode: 240
; IeeeMode: 1
; LDSByteSize: 19968 bytes/workgroup (compile time only)
; SGPRBlocks: 6
; VGPRBlocks: 31
; NumSGPRsForWavesPerEU: 50
; NumVGPRsForWavesPerEU: 256
; Occupancy: 3
; WaveLimiterHint : 1
; COMPUTE_PGM_RSRC2:SCRATCH_EN: 1
; COMPUTE_PGM_RSRC2:USER_SGPR: 15
; COMPUTE_PGM_RSRC2:TRAP_HANDLER: 0
; COMPUTE_PGM_RSRC2:TGID_X_EN: 1
; COMPUTE_PGM_RSRC2:TGID_Y_EN: 0
; COMPUTE_PGM_RSRC2:TGID_Z_EN: 0
; COMPUTE_PGM_RSRC2:TIDIG_COMP_CNT: 0
	.text
	.p2alignl 7, 3214868480
	.fill 96, 4, 3214868480
	.type	__hip_cuid_7154dd2572ad2c76,@object ; @__hip_cuid_7154dd2572ad2c76
	.section	.bss,"aw",@nobits
	.globl	__hip_cuid_7154dd2572ad2c76
__hip_cuid_7154dd2572ad2c76:
	.byte	0                               ; 0x0
	.size	__hip_cuid_7154dd2572ad2c76, 1

	.ident	"AMD clang version 19.0.0git (https://github.com/RadeonOpenCompute/llvm-project roc-6.4.0 25133 c7fe45cf4b819c5991fe208aaa96edf142730f1d)"
	.section	".note.GNU-stack","",@progbits
	.addrsig
	.addrsig_sym __hip_cuid_7154dd2572ad2c76
	.amdgpu_metadata
---
amdhsa.kernels:
  - .args:
      - .actual_access:  read_only
        .address_space:  global
        .offset:         0
        .size:           8
        .value_kind:     global_buffer
      - .actual_access:  read_only
        .address_space:  global
        .offset:         8
        .size:           8
        .value_kind:     global_buffer
      - .actual_access:  read_only
        .address_space:  global
        .offset:         16
        .size:           8
        .value_kind:     global_buffer
      - .actual_access:  read_only
        .address_space:  global
        .offset:         24
        .size:           8
        .value_kind:     global_buffer
      - .actual_access:  read_only
        .address_space:  global
        .offset:         32
        .size:           8
        .value_kind:     global_buffer
      - .offset:         40
        .size:           8
        .value_kind:     by_value
      - .address_space:  global
        .offset:         48
        .size:           8
        .value_kind:     global_buffer
      - .address_space:  global
        .offset:         56
        .size:           8
        .value_kind:     global_buffer
      - .address_space:  global
        .offset:         64
        .size:           8
        .value_kind:     global_buffer
      - .address_space:  global
        .offset:         72
        .size:           8
        .value_kind:     global_buffer
      - .offset:         80
        .size:           4
        .value_kind:     by_value
      - .address_space:  global
        .offset:         88
        .size:           8
        .value_kind:     global_buffer
      - .address_space:  global
        .offset:         96
        .size:           8
        .value_kind:     global_buffer
    .group_segment_fixed_size: 19968
    .kernarg_segment_align: 8
    .kernarg_segment_size: 104
    .language:       OpenCL C
    .language_version:
      - 2
      - 0
    .max_flat_workgroup_size: 52
    .name:           bluestein_single_fwd_len1248_dim1_dp_op_CI_CI
    .private_segment_fixed_size: 1080
    .sgpr_count:     50
    .sgpr_spill_count: 0
    .symbol:         bluestein_single_fwd_len1248_dim1_dp_op_CI_CI.kd
    .uniform_work_group_size: 1
    .uses_dynamic_stack: false
    .vgpr_count:     256
    .vgpr_spill_count: 314
    .wavefront_size: 32
    .workgroup_processor_mode: 1
amdhsa.target:   amdgcn-amd-amdhsa--gfx1100
amdhsa.version:
  - 1
  - 2
...

	.end_amdgpu_metadata
